;; amdgpu-corpus repo=ROCm/rocFFT kind=compiled arch=gfx1030 opt=O3
	.text
	.amdgcn_target "amdgcn-amd-amdhsa--gfx1030"
	.amdhsa_code_object_version 6
	.protected	fft_rtc_fwd_len1155_factors_11_5_7_3_wgs_55_tpt_55_halfLds_half_ip_CI_unitstride_sbrr_dirReg ; -- Begin function fft_rtc_fwd_len1155_factors_11_5_7_3_wgs_55_tpt_55_halfLds_half_ip_CI_unitstride_sbrr_dirReg
	.globl	fft_rtc_fwd_len1155_factors_11_5_7_3_wgs_55_tpt_55_halfLds_half_ip_CI_unitstride_sbrr_dirReg
	.p2align	8
	.type	fft_rtc_fwd_len1155_factors_11_5_7_3_wgs_55_tpt_55_halfLds_half_ip_CI_unitstride_sbrr_dirReg,@function
fft_rtc_fwd_len1155_factors_11_5_7_3_wgs_55_tpt_55_halfLds_half_ip_CI_unitstride_sbrr_dirReg: ; @fft_rtc_fwd_len1155_factors_11_5_7_3_wgs_55_tpt_55_halfLds_half_ip_CI_unitstride_sbrr_dirReg
; %bb.0:
	s_clause 0x2
	s_load_dwordx4 s[8:11], s[4:5], 0x0
	s_load_dwordx2 s[2:3], s[4:5], 0x50
	s_load_dwordx2 s[12:13], s[4:5], 0x18
	v_mul_u32_u24_e32 v1, 0x4a8, v0
	v_mov_b32_e32 v3, 0
	v_add_nc_u32_sdwa v5, s6, v1 dst_sel:DWORD dst_unused:UNUSED_PAD src0_sel:DWORD src1_sel:WORD_1
	v_mov_b32_e32 v1, 0
	v_mov_b32_e32 v6, v3
	v_mov_b32_e32 v2, 0
	s_waitcnt lgkmcnt(0)
	v_cmp_lt_u64_e64 s0, s[10:11], 2
	s_and_b32 vcc_lo, exec_lo, s0
	s_cbranch_vccnz .LBB0_8
; %bb.1:
	s_load_dwordx2 s[0:1], s[4:5], 0x10
	v_mov_b32_e32 v1, 0
	s_add_u32 s6, s12, 8
	v_mov_b32_e32 v2, 0
	s_addc_u32 s7, s13, 0
	s_mov_b64 s[16:17], 1
	s_waitcnt lgkmcnt(0)
	s_add_u32 s14, s0, 8
	s_addc_u32 s15, s1, 0
.LBB0_2:                                ; =>This Inner Loop Header: Depth=1
	s_load_dwordx2 s[18:19], s[14:15], 0x0
                                        ; implicit-def: $vgpr7_vgpr8
	s_mov_b32 s0, exec_lo
	s_waitcnt lgkmcnt(0)
	v_or_b32_e32 v4, s19, v6
	v_cmpx_ne_u64_e32 0, v[3:4]
	s_xor_b32 s1, exec_lo, s0
	s_cbranch_execz .LBB0_4
; %bb.3:                                ;   in Loop: Header=BB0_2 Depth=1
	v_cvt_f32_u32_e32 v4, s18
	v_cvt_f32_u32_e32 v7, s19
	s_sub_u32 s0, 0, s18
	s_subb_u32 s20, 0, s19
	v_fmac_f32_e32 v4, 0x4f800000, v7
	v_rcp_f32_e32 v4, v4
	v_mul_f32_e32 v4, 0x5f7ffffc, v4
	v_mul_f32_e32 v7, 0x2f800000, v4
	v_trunc_f32_e32 v7, v7
	v_fmac_f32_e32 v4, 0xcf800000, v7
	v_cvt_u32_f32_e32 v7, v7
	v_cvt_u32_f32_e32 v4, v4
	v_mul_lo_u32 v8, s0, v7
	v_mul_hi_u32 v9, s0, v4
	v_mul_lo_u32 v10, s20, v4
	v_add_nc_u32_e32 v8, v9, v8
	v_mul_lo_u32 v9, s0, v4
	v_add_nc_u32_e32 v8, v8, v10
	v_mul_hi_u32 v10, v4, v9
	v_mul_lo_u32 v11, v4, v8
	v_mul_hi_u32 v12, v4, v8
	v_mul_hi_u32 v13, v7, v9
	v_mul_lo_u32 v9, v7, v9
	v_mul_hi_u32 v14, v7, v8
	v_mul_lo_u32 v8, v7, v8
	v_add_co_u32 v10, vcc_lo, v10, v11
	v_add_co_ci_u32_e32 v11, vcc_lo, 0, v12, vcc_lo
	v_add_co_u32 v9, vcc_lo, v10, v9
	v_add_co_ci_u32_e32 v9, vcc_lo, v11, v13, vcc_lo
	v_add_co_ci_u32_e32 v10, vcc_lo, 0, v14, vcc_lo
	v_add_co_u32 v8, vcc_lo, v9, v8
	v_add_co_ci_u32_e32 v9, vcc_lo, 0, v10, vcc_lo
	v_add_co_u32 v4, vcc_lo, v4, v8
	v_add_co_ci_u32_e32 v7, vcc_lo, v7, v9, vcc_lo
	v_mul_hi_u32 v8, s0, v4
	v_mul_lo_u32 v10, s20, v4
	v_mul_lo_u32 v9, s0, v7
	v_add_nc_u32_e32 v8, v8, v9
	v_mul_lo_u32 v9, s0, v4
	v_add_nc_u32_e32 v8, v8, v10
	v_mul_hi_u32 v10, v4, v9
	v_mul_lo_u32 v11, v4, v8
	v_mul_hi_u32 v12, v4, v8
	v_mul_hi_u32 v13, v7, v9
	v_mul_lo_u32 v9, v7, v9
	v_mul_hi_u32 v14, v7, v8
	v_mul_lo_u32 v8, v7, v8
	v_add_co_u32 v10, vcc_lo, v10, v11
	v_add_co_ci_u32_e32 v11, vcc_lo, 0, v12, vcc_lo
	v_add_co_u32 v9, vcc_lo, v10, v9
	v_add_co_ci_u32_e32 v9, vcc_lo, v11, v13, vcc_lo
	v_add_co_ci_u32_e32 v10, vcc_lo, 0, v14, vcc_lo
	v_add_co_u32 v8, vcc_lo, v9, v8
	v_add_co_ci_u32_e32 v9, vcc_lo, 0, v10, vcc_lo
	v_add_co_u32 v4, vcc_lo, v4, v8
	v_add_co_ci_u32_e32 v11, vcc_lo, v7, v9, vcc_lo
	v_mul_hi_u32 v13, v5, v4
	v_mad_u64_u32 v[9:10], null, v6, v4, 0
	v_mad_u64_u32 v[7:8], null, v5, v11, 0
	;; [unrolled: 1-line block ×3, first 2 shown]
	v_add_co_u32 v4, vcc_lo, v13, v7
	v_add_co_ci_u32_e32 v7, vcc_lo, 0, v8, vcc_lo
	v_add_co_u32 v4, vcc_lo, v4, v9
	v_add_co_ci_u32_e32 v4, vcc_lo, v7, v10, vcc_lo
	v_add_co_ci_u32_e32 v7, vcc_lo, 0, v12, vcc_lo
	v_add_co_u32 v4, vcc_lo, v4, v11
	v_add_co_ci_u32_e32 v9, vcc_lo, 0, v7, vcc_lo
	v_mul_lo_u32 v10, s19, v4
	v_mad_u64_u32 v[7:8], null, s18, v4, 0
	v_mul_lo_u32 v11, s18, v9
	v_sub_co_u32 v7, vcc_lo, v5, v7
	v_add3_u32 v8, v8, v11, v10
	v_sub_nc_u32_e32 v10, v6, v8
	v_subrev_co_ci_u32_e64 v10, s0, s19, v10, vcc_lo
	v_add_co_u32 v11, s0, v4, 2
	v_add_co_ci_u32_e64 v12, s0, 0, v9, s0
	v_sub_co_u32 v13, s0, v7, s18
	v_sub_co_ci_u32_e32 v8, vcc_lo, v6, v8, vcc_lo
	v_subrev_co_ci_u32_e64 v10, s0, 0, v10, s0
	v_cmp_le_u32_e32 vcc_lo, s18, v13
	v_cmp_eq_u32_e64 s0, s19, v8
	v_cndmask_b32_e64 v13, 0, -1, vcc_lo
	v_cmp_le_u32_e32 vcc_lo, s19, v10
	v_cndmask_b32_e64 v14, 0, -1, vcc_lo
	v_cmp_le_u32_e32 vcc_lo, s18, v7
	;; [unrolled: 2-line block ×3, first 2 shown]
	v_cndmask_b32_e64 v15, 0, -1, vcc_lo
	v_cmp_eq_u32_e32 vcc_lo, s19, v10
	v_cndmask_b32_e64 v7, v15, v7, s0
	v_cndmask_b32_e32 v10, v14, v13, vcc_lo
	v_add_co_u32 v13, vcc_lo, v4, 1
	v_add_co_ci_u32_e32 v14, vcc_lo, 0, v9, vcc_lo
	v_cmp_ne_u32_e32 vcc_lo, 0, v10
	v_cndmask_b32_e32 v8, v14, v12, vcc_lo
	v_cndmask_b32_e32 v10, v13, v11, vcc_lo
	v_cmp_ne_u32_e32 vcc_lo, 0, v7
	v_cndmask_b32_e32 v8, v9, v8, vcc_lo
	v_cndmask_b32_e32 v7, v4, v10, vcc_lo
.LBB0_4:                                ;   in Loop: Header=BB0_2 Depth=1
	s_andn2_saveexec_b32 s0, s1
	s_cbranch_execz .LBB0_6
; %bb.5:                                ;   in Loop: Header=BB0_2 Depth=1
	v_cvt_f32_u32_e32 v4, s18
	s_sub_i32 s1, 0, s18
	v_rcp_iflag_f32_e32 v4, v4
	v_mul_f32_e32 v4, 0x4f7ffffe, v4
	v_cvt_u32_f32_e32 v4, v4
	v_mul_lo_u32 v7, s1, v4
	v_mul_hi_u32 v7, v4, v7
	v_add_nc_u32_e32 v4, v4, v7
	v_mul_hi_u32 v4, v5, v4
	v_mul_lo_u32 v7, v4, s18
	v_add_nc_u32_e32 v8, 1, v4
	v_sub_nc_u32_e32 v7, v5, v7
	v_subrev_nc_u32_e32 v9, s18, v7
	v_cmp_le_u32_e32 vcc_lo, s18, v7
	v_cndmask_b32_e32 v7, v7, v9, vcc_lo
	v_cndmask_b32_e32 v4, v4, v8, vcc_lo
	v_cmp_le_u32_e32 vcc_lo, s18, v7
	v_add_nc_u32_e32 v8, 1, v4
	v_cndmask_b32_e32 v7, v4, v8, vcc_lo
	v_mov_b32_e32 v8, v3
.LBB0_6:                                ;   in Loop: Header=BB0_2 Depth=1
	s_or_b32 exec_lo, exec_lo, s0
	s_load_dwordx2 s[0:1], s[6:7], 0x0
	v_mul_lo_u32 v4, v8, s18
	v_mul_lo_u32 v11, v7, s19
	v_mad_u64_u32 v[9:10], null, v7, s18, 0
	s_add_u32 s16, s16, 1
	s_addc_u32 s17, s17, 0
	s_add_u32 s6, s6, 8
	s_addc_u32 s7, s7, 0
	;; [unrolled: 2-line block ×3, first 2 shown]
	v_add3_u32 v4, v10, v11, v4
	v_sub_co_u32 v5, vcc_lo, v5, v9
	v_sub_co_ci_u32_e32 v4, vcc_lo, v6, v4, vcc_lo
	s_waitcnt lgkmcnt(0)
	v_mul_lo_u32 v6, s1, v5
	v_mul_lo_u32 v4, s0, v4
	v_mad_u64_u32 v[1:2], null, s0, v5, v[1:2]
	v_cmp_ge_u64_e64 s0, s[16:17], s[10:11]
	s_and_b32 vcc_lo, exec_lo, s0
	v_add3_u32 v2, v6, v2, v4
	s_cbranch_vccnz .LBB0_9
; %bb.7:                                ;   in Loop: Header=BB0_2 Depth=1
	v_mov_b32_e32 v5, v7
	v_mov_b32_e32 v6, v8
	s_branch .LBB0_2
.LBB0_8:
	v_mov_b32_e32 v8, v6
	v_mov_b32_e32 v7, v5
.LBB0_9:
	s_lshl_b64 s[0:1], s[10:11], 3
	v_mul_hi_u32 v3, 0x4a7904b, v0
	s_add_u32 s0, s12, s0
	s_addc_u32 s1, s13, s1
	v_mov_b32_e32 v12, 0
	s_load_dwordx2 s[0:1], s[0:1], 0x0
	s_load_dwordx2 s[4:5], s[4:5], 0x20
                                        ; implicit-def: $vgpr13
                                        ; implicit-def: $vgpr67
                                        ; implicit-def: $vgpr56
                                        ; implicit-def: $vgpr66
                                        ; implicit-def: $vgpr54
                                        ; implicit-def: $vgpr65
                                        ; implicit-def: $vgpr53
                                        ; implicit-def: $vgpr63
                                        ; implicit-def: $vgpr52
                                        ; implicit-def: $vgpr62
                                        ; implicit-def: $vgpr47
                                        ; implicit-def: $vgpr61
                                        ; implicit-def: $vgpr55
                                        ; implicit-def: $vgpr60
                                        ; implicit-def: $vgpr57
                                        ; implicit-def: $vgpr9
                                        ; implicit-def: $vgpr58
                                        ; implicit-def: $vgpr20
                                        ; implicit-def: $vgpr37
                                        ; implicit-def: $vgpr19
                                        ; implicit-def: $vgpr32
                                        ; implicit-def: $vgpr18
                                        ; implicit-def: $vgpr31
                                        ; implicit-def: $vgpr17
                                        ; implicit-def: $vgpr30
                                        ; implicit-def: $vgpr16
                                        ; implicit-def: $vgpr28
                                        ; implicit-def: $vgpr15
                                        ; implicit-def: $vgpr34
                                        ; implicit-def: $vgpr10
                                        ; implicit-def: $vgpr46
                                        ; implicit-def: $vgpr11
                                        ; implicit-def: $vgpr45
                                        ; implicit-def: $vgpr14
                                        ; implicit-def: $vgpr40
                                        ; implicit-def: $vgpr38
                                        ; implicit-def: $vgpr64
                                        ; implicit-def: $vgpr59
                                        ; implicit-def: $vgpr68
                                        ; implicit-def: $vgpr51
	v_mul_u32_u24_e32 v3, 55, v3
	s_waitcnt lgkmcnt(0)
	v_mul_lo_u32 v4, s0, v8
	v_mul_lo_u32 v5, s1, v7
	v_mad_u64_u32 v[1:2], null, s0, v7, v[1:2]
	v_cmp_gt_u64_e32 vcc_lo, s[4:5], v[7:8]
	v_add3_u32 v2, v5, v2, v4
	v_sub_nc_u32_e32 v4, v0, v3
	v_mov_b32_e32 v5, 0
	v_lshlrev_b64 v[6:7], 2, v[1:2]
                                        ; implicit-def: $vgpr1
	s_and_saveexec_b32 s1, vcc_lo
	s_cbranch_execz .LBB0_13
; %bb.10:
	v_mov_b32_e32 v5, 0
	v_add_co_u32 v2, s0, s2, v6
	v_add_co_ci_u32_e64 v3, s0, s3, v7, s0
	v_lshlrev_b64 v[0:1], 2, v[4:5]
	v_mov_b32_e32 v12, v5
                                        ; implicit-def: $vgpr38
                                        ; implicit-def: $vgpr40
                                        ; implicit-def: $vgpr14
                                        ; implicit-def: $vgpr45
                                        ; implicit-def: $vgpr11
                                        ; implicit-def: $vgpr46
                                        ; implicit-def: $vgpr10
                                        ; implicit-def: $vgpr34
                                        ; implicit-def: $vgpr15
                                        ; implicit-def: $vgpr28
                                        ; implicit-def: $vgpr16
                                        ; implicit-def: $vgpr30
                                        ; implicit-def: $vgpr17
                                        ; implicit-def: $vgpr31
                                        ; implicit-def: $vgpr18
                                        ; implicit-def: $vgpr32
                                        ; implicit-def: $vgpr19
                                        ; implicit-def: $vgpr37
                                        ; implicit-def: $vgpr20
	v_add_co_u32 v8, s0, v2, v0
	v_add_co_ci_u32_e64 v9, s0, v3, v1, s0
	v_add_co_u32 v0, s0, 0x800, v8
	v_add_co_ci_u32_e64 v1, s0, 0, v9, s0
	;; [unrolled: 2-line block ×3, first 2 shown]
	s_clause 0xa
	global_load_dword v13, v[8:9], off
	global_load_dword v56, v[8:9], off offset:420
	global_load_dword v54, v[8:9], off offset:840
	;; [unrolled: 1-line block ×10, first 2 shown]
	v_cmp_gt_u32_e64 s0, 50, v4
	s_and_saveexec_b32 s4, s0
	s_cbranch_execz .LBB0_12
; %bb.11:
	s_clause 0xa
	global_load_dword v12, v[8:9], off offset:220
	global_load_dword v37, v[8:9], off offset:640
	;; [unrolled: 1-line block ×11, first 2 shown]
	s_waitcnt vmcnt(9)
	v_lshrrev_b32_e32 v20, 16, v37
	s_waitcnt vmcnt(8)
	v_lshrrev_b32_e32 v19, 16, v32
	s_waitcnt vmcnt(7)
	v_lshrrev_b32_e32 v18, 16, v31
	s_waitcnt vmcnt(6)
	v_lshrrev_b32_e32 v17, 16, v30
	s_waitcnt vmcnt(5)
	v_lshrrev_b32_e32 v16, 16, v28
	s_waitcnt vmcnt(4)
	v_lshrrev_b32_e32 v15, 16, v34
	s_waitcnt vmcnt(3)
	v_lshrrev_b32_e32 v14, 16, v40
	s_waitcnt vmcnt(2)
	v_lshrrev_b32_e32 v11, 16, v45
	s_waitcnt vmcnt(1)
	v_lshrrev_b32_e32 v10, 16, v46
	s_waitcnt vmcnt(0)
	v_perm_b32 v5, v12, v38, 0x7060302
.LBB0_12:
	s_or_b32 exec_lo, exec_lo, s4
	s_waitcnt vmcnt(10)
	v_lshrrev_b32_e32 v1, 16, v13
	s_waitcnt vmcnt(9)
	v_lshrrev_b32_e32 v67, 16, v56
	;; [unrolled: 2-line block ×11, first 2 shown]
.LBB0_13:
	s_or_b32 exec_lo, exec_lo, s1
	v_sub_f16_e32 v0, v67, v64
	v_add_f16_e32 v2, v59, v56
	v_sub_f16_e32 v21, v66, v9
	v_add_f16_e32 v8, v54, v58
	v_sub_f16_e32 v27, v65, v60
	v_mul_f16_e32 v3, 0xb482, v0
	v_pk_mul_f16 v23, 0xbb47b853, v0 op_sel_hi:[1,0]
	v_mul_f16_e32 v22, 0x3853, v21
	v_pk_mul_f16 v33, 0xba0cbb47, v21 op_sel_hi:[1,0]
	v_add_f16_e32 v29, v53, v57
	v_fma_f16 v25, v2, 0xbbad, -v3
	v_pk_fma_f16 v26, 0x36a63abb, v2, v23 op_sel_hi:[1,0,1] neg_lo:[0,0,1] neg_hi:[0,0,1]
	v_pk_mul_f16 v35, 0x3482bbeb, v27 op_sel_hi:[1,0]
	v_fma_f16 v36, v8, 0x3abb, -v22
	v_pk_fma_f16 v39, 0xb93d36a6, v8, v33 op_sel_hi:[1,0,1] neg_lo:[0,0,1] neg_hi:[0,0,1]
	v_add_f16_e32 v25, v25, v13
	v_pk_add_f16 v26, v26, v13 op_sel_hi:[1,0]
	v_mul_f16_e32 v24, 0xba0c, v27
	v_sub_f16_e32 v41, v63, v61
	v_sub_f16_e32 v48, v62, v68
	v_add_f16_e32 v25, v36, v25
	v_pk_fma_f16 v36, 0xbbadb08e, v29, v35 op_sel_hi:[1,0,1] neg_lo:[0,0,1] neg_hi:[0,0,1]
	v_pk_add_f16 v26, v39, v26
	v_fma_f16 v42, v29, 0xb93d, -v24
	v_add_f16_e32 v39, v52, v55
	v_mul_f16_e32 v43, 0x3b47, v41
	v_add_f16_e32 v49, v51, v47
	v_pk_add_f16 v26, v36, v26
	v_pk_mul_f16 v36, 0xba0cbbeb, v0 op_sel_hi:[1,0]
	v_add_f16_e32 v25, v42, v25
	v_fma_f16 v42, v39, 0x36a6, -v43
	v_mul_f16_e32 v44, 0xbbeb, v48
	v_pk_mul_f16 v70, 0x3beb3482, v21 op_sel_hi:[1,0]
	v_pk_fma_f16 v69, 0xb93db08e, v2, v36 op_sel_hi:[1,0,1] neg_lo:[0,0,1] neg_hi:[0,0,1]
	v_pk_mul_f16 v50, 0x3bebba0c, v41 op_sel_hi:[1,0]
	v_add_f16_e32 v25, v42, v25
	v_fma_f16 v42, v49, 0xb08e, -v44
	v_pk_fma_f16 v72, 0xb08ebbad, v8, v70 op_sel_hi:[1,0,1] neg_lo:[0,0,1] neg_hi:[0,0,1]
	v_pk_add_f16 v69, v69, v13 op_sel_hi:[1,0]
	v_pk_fma_f16 v71, 0xb08eb93d, v39, v50 op_sel_hi:[1,0,1] neg_lo:[0,0,1] neg_hi:[0,0,1]
	v_mul_f16_e32 v73, 0x3abb, v8
	v_add_f16_e32 v25, v42, v25
	v_pk_mul_f16 v74, 0xb08ebbad, v8 op_sel_hi:[1,0]
	v_pk_add_f16 v42, v72, v69
	v_mul_f16_e32 v69, 0xbbad, v2
	v_pk_mul_f16 v72, 0xb93db08e, v2 op_sel_hi:[1,0]
	v_bfi_b32 v3, 0xffff, v3, v36
	v_pk_add_f16 v26, v71, v26
	v_pk_mul_f16 v71, 0xb8533b47, v27 op_sel_hi:[1,0]
	v_bfi_b32 v22, 0xffff, v22, v70
	v_bfi_b32 v69, 0xffff, v69, v72
	v_add_f16_e32 v72, v13, v56
	v_bfi_b32 v70, 0xffff, v73, v74
	v_pk_fma_f16 v36, 0x3abb36a6, v29, v71 op_sel_hi:[1,0,1] neg_lo:[0,0,1] neg_hi:[0,0,1]
	v_pk_mul_f16 v73, 0x3abb36a6, v29 op_sel_hi:[1,0]
	v_pk_add_f16 v3, v3, v69
	v_add_f16_e32 v69, v72, v54
	v_pk_add_f16 v22, v22, v70
	v_pk_add_f16 v36, v36, v42
	v_mul_f16_e32 v42, 0xb93d, v29
	v_pk_add_f16 v3, v3, v13 op_sel_hi:[1,0]
	v_add_f16_e32 v69, v69, v53
	v_bfi_b32 v24, 0xffff, v24, v71
	v_pk_mul_f16 v70, 0xb482b853, v41 op_sel_hi:[1,0]
	v_bfi_b32 v42, 0xffff, v42, v73
	v_pk_add_f16 v3, v22, v3
	v_add_f16_e32 v22, v69, v52
	v_mul_f16_e32 v71, 0x36a6, v39
	v_pk_mul_f16 v72, 0xbbad3abb, v39 op_sel_hi:[1,0]
	v_pk_fma_f16 v69, 0xbbad3abb, v39, v70 op_sel_hi:[1,0,1] neg_lo:[0,0,1] neg_hi:[0,0,1]
	v_pk_add_f16 v24, v24, v42
	v_add_f16_e32 v22, v22, v47
	v_bfi_b32 v43, 0xffff, v43, v70
	v_bfi_b32 v42, 0xffff, v71, v72
	v_pk_add_f16 v36, v69, v36
	v_mul_f16_e32 v69, 0xb08e, v49
	v_add_f16_e32 v22, v22, v51
	v_pk_mul_f16 v70, 0x36a6b93d, v49 op_sel_hi:[1,0]
	v_pk_add_f16 v3, v24, v3
	v_pk_mul_f16 v24, 0x3b47ba0c, v48 op_sel_hi:[1,0]
	v_pk_add_f16 v42, v43, v42
	v_add_f16_e32 v22, v22, v55
	v_bfi_b32 v43, 0xffff, v69, v70
	v_pk_mul_f16 v69, 0x3853b482, v48 op_sel_hi:[1,0]
	v_bfi_b32 v44, 0xffff, v44, v24
	v_pk_fma_f16 v24, 0x36a6b93d, v49, v24 op_sel_hi:[1,0,1] neg_lo:[0,0,1] neg_hi:[0,0,1]
	v_add_f16_e32 v22, v22, v57
	v_pk_add_f16 v3, v42, v3
	v_pk_fma_f16 v42, 0x3abbbbad, v49, v69 op_sel_hi:[1,0,1] neg_lo:[0,0,1] neg_hi:[0,0,1]
	v_pk_add_f16 v43, v44, v43
	v_pk_add_f16 v24, v24, v36
	v_add_f16_e32 v22, v22, v58
	v_fmamk_f16 v72, v8, 0x36a6, v33
	v_pk_add_f16 v70, v42, v26
	v_pk_add_f16 v44, v43, v3
	v_pk_mul_f16 v3, 0x36a6b08e, v2 op_sel_hi:[1,0]
	v_add_f16_e32 v71, v59, v22
	v_add_f16_e32 v22, v37, v46
	v_alignbit_b32 v43, v25, v24, 16
	v_alignbit_b32 v42, v24, v70, 16
	v_fmamk_f16 v2, v2, 0x3abb, v23
	v_pk_fma_f16 v0, 0xbb47bbeb, v0, v3 op_sel_hi:[1,0,1]
	v_pk_mul_f16 v24, 0xb93dbbad, v8 op_sel_hi:[1,0]
	v_sub_f16_e32 v25, v20, v10
	v_pk_mul_f16 v3, 0x3abb36a6, v22 op_sel_hi:[1,0]
	v_add_f16_e32 v23, v32, v45
	v_add_f16_e32 v2, v2, v13
	v_pk_add_f16 v0, v0, v13 op_sel_hi:[1,0]
	v_pk_fma_f16 v13, 0xba0c3482, v21, v24 op_sel_hi:[1,0,1]
	v_pk_fma_f16 v36, 0xb853bb47, v25, v3 op_sel_hi:[1,0,1]
	v_sub_f16_e32 v26, v19, v11
	v_pk_mul_f16 v21, 0x36a6b93d, v23 op_sel_hi:[1,0]
	v_add_f16_e32 v24, v31, v40
	v_pk_mul_f16 v73, 0xbbad36a6, v29 op_sel_hi:[1,0]
	v_pk_add_f16 v36, v12, v36 op_sel_hi:[0,1]
	v_sub_f16_e32 v33, v18, v14
	v_pk_fma_f16 v74, 0xbb47ba0c, v26, v21 op_sel_hi:[1,0,1]
	v_pk_mul_f16 v8, 0xb08ebbad, v24 op_sel_hi:[1,0]
	v_pk_add_f16 v0, v13, v0
	v_pk_fma_f16 v13, 0x34823b47, v27, v73 op_sel_hi:[1,0,1]
	v_add_f16_e32 v2, v72, v2
	v_pk_add_f16 v36, v36, v74
	v_pk_mul_f16 v72, 0xb08e3abb, v39 op_sel_hi:[1,0]
	v_pk_fma_f16 v73, 0xbbeb3482, v33, v8 op_sel_hi:[1,0,1]
	v_fmamk_f16 v29, v29, 0xb08e, v35
	v_add_f16_e32 v27, v30, v34
	v_pk_add_f16 v0, v13, v0
	v_pk_fma_f16 v41, 0x3bebb853, v41, v72 op_sel_hi:[1,0,1]
	v_pk_add_f16 v72, v36, v73
	v_sub_f16_e32 v35, v17, v15
	v_pk_mul_f16 v13, 0xb93db08e, v27 op_sel_hi:[1,0]
	v_add_f16_e32 v73, v29, v2
	v_add_f16_e32 v29, v28, v38
	v_fmamk_f16 v39, v39, 0xb93d, v50
	v_pk_mul_f16 v50, 0x3abbb93d, v49 op_sel_hi:[1,0]
	v_pk_fma_f16 v74, 0xba0c3beb, v35, v13 op_sel_hi:[1,0,1]
	v_sub_f16_e32 v36, v16, v5
	v_pk_mul_f16 v2, 0xbbad3abb, v29 op_sel_hi:[1,0]
	v_pk_add_f16 v0, v41, v0
	v_pk_fma_f16 v48, 0x3853ba0c, v48, v50 op_sel_hi:[1,0,1]
	v_pk_add_f16 v50, v74, v72
	v_add_f16_e32 v39, v39, v73
	v_pk_fma_f16 v72, 0xb4823853, v36, v2 op_sel_hi:[1,0,1]
	v_fmamk_f16 v49, v49, 0xbbad, v69
	v_pack_b32_f16 v41, v71, v70
	v_mad_u32_u24 v69, v4, 22, 0
	v_pk_add_f16 v48, v48, v0
	v_pk_add_f16 v0, v50, v72
	v_cmp_gt_u32_e64 s1, 50, v4
	v_add_f16_e32 v39, v49, v39
	ds_write_b128 v69, v[41:44]
	ds_write_b32 v69, v48 offset:16
	ds_write_b16 v69, v39 offset:20
	s_and_saveexec_b32 s0, s1
	s_cbranch_execz .LBB0_15
; %bb.14:
	v_pack_b32_f16 v42, v25, v25
	v_pk_mul_f16 v43, 0xb853bb47, v25 op_sel_hi:[1,0]
	v_mul_f16_e32 v25, 0xb482, v25
	v_pack_b32_f16 v49, v26, v26
	v_pk_mul_f16 v50, 0xbb47ba0c, v26 op_sel_hi:[1,0]
	v_mul_f16_e32 v26, 0x3853, v26
	v_add_f16_e32 v39, v12, v37
	v_fma_f16 v78, v22, 0xbbad, -v25
	v_pack_b32_f16 v71, v33, v33
	v_pk_mul_f16 v72, 0xbbeb3482, v33 op_sel_hi:[1,0]
	v_mul_f16_e32 v33, 0xba0c, v33
	v_fma_f16 v80, v23, 0x3abb, -v26
	v_add_f16_e32 v78, v12, v78
	v_add_f16_e32 v39, v39, v32
	v_pack_b32_f16 v74, v35, v35
	v_pk_mul_f16 v75, 0xba0c3beb, v35 op_sel_hi:[1,0]
	v_mul_f16_e32 v35, 0x3b47, v35
	v_fma_f16 v81, v24, 0xb93d, -v33
	v_add_f16_e32 v78, v78, v80
	v_pack_b32_f16 v41, v22, v22
	v_add_f16_e32 v39, v39, v31
	v_pack_b32_f16 v77, v36, v36
	v_pk_mul_f16 v79, 0xb4823853, v36 op_sel_hi:[1,0]
	v_mul_f16_e32 v36, 0xbbeb, v36
	v_fma_f16 v80, v27, 0x36a6, -v35
	v_add_f16_e32 v78, v78, v81
	v_perm_b32 v44, v12, v12, 0x5040100
	v_pack_b32_f16 v48, v23, v23
	v_add_f16_e32 v39, v39, v30
	v_mul_f16_e32 v22, 0xbbad, v22
	v_fma_f16 v81, v29, 0xb08e, -v36
	v_add_f16_e32 v78, v80, v78
	v_pk_mul_f16 v80, 0xb93db08e, v41
	v_pk_mul_f16 v42, 0xba0cbbeb, v42
	v_pk_add_f16 v3, v3, v43 neg_lo:[0,1] neg_hi:[0,1]
	v_pack_b32_f16 v70, v24, v24
	v_add_f16_e32 v39, v39, v28
	v_mul_f16_e32 v23, 0x3abb, v23
	v_add_f16_e32 v78, v78, v81
	v_pk_mul_f16 v81, 0xb08ebbad, v48
	v_pk_mul_f16 v49, 0x3beb3482, v49
	v_pk_add_f16 v3, v44, v3
	v_pk_add_f16 v21, v21, v50 neg_lo:[0,1] neg_hi:[0,1]
	v_pk_fma_f16 v41, 0xb93db08e, v41, v42 neg_lo:[0,0,1] neg_hi:[0,0,1]
	v_bfi_b32 v25, 0xffff, v25, v42
	v_bfi_b32 v22, 0xffff, v22, v80
	v_pack_b32_f16 v73, v27, v27
	v_add_f16_e32 v39, v39, v38
	v_mul_f16_e32 v24, 0xb93d, v24
	v_pk_mul_f16 v83, 0x3abb36a6, v70
	v_pk_mul_f16 v71, 0xb8533b47, v71
	v_pk_add_f16 v3, v3, v21
	v_pk_add_f16 v8, v8, v72 neg_lo:[0,1] neg_hi:[0,1]
	v_pk_add_f16 v21, v44, v41
	v_pk_fma_f16 v41, 0xb08ebbad, v48, v49 neg_lo:[0,0,1] neg_hi:[0,0,1]
	v_pk_add_f16 v22, v25, v22
	v_bfi_b32 v25, 0xffff, v26, v49
	v_bfi_b32 v23, 0xffff, v23, v81
	v_add_f16_e32 v82, v42, v80
	v_pack_b32_f16 v76, v29, v29
	v_add_f16_e32 v39, v34, v39
	v_mul_f16_e32 v27, 0x36a6, v27
	v_pk_mul_f16 v84, 0xbbad3abb, v73
	v_pk_mul_f16 v43, 0xb482b853, v74
	v_pk_add_f16 v3, v3, v8
	v_pk_add_f16 v8, v21, v41
	v_pk_fma_f16 v21, 0x3abb36a6, v70, v71 neg_lo:[0,0,1] neg_hi:[0,0,1]
	v_pk_add_f16 v22, v44, v22
	v_pk_add_f16 v23, v25, v23
	v_bfi_b32 v25, 0xffff, v33, v71
	v_bfi_b32 v24, 0xffff, v24, v83
	v_add_f16_e32 v12, v12, v82
	v_add_f16_e32 v82, v49, v81
	;; [unrolled: 1-line block ×3, first 2 shown]
	v_mul_f16_e32 v29, 0xb08e, v29
	v_pk_mul_f16 v74, 0x36a6b93d, v76
	v_pk_mul_f16 v77, 0x3b47ba0c, v77
	v_pk_add_f16 v13, v13, v75 neg_lo:[0,1] neg_hi:[0,1]
	v_pk_add_f16 v8, v8, v21
	v_pk_fma_f16 v21, 0xbbad3abb, v73, v43 neg_lo:[0,0,1] neg_hi:[0,0,1]
	v_pk_add_f16 v22, v22, v23
	v_pk_add_f16 v23, v25, v24
	v_bfi_b32 v24, 0xffff, v35, v43
	v_bfi_b32 v25, 0xffff, v27, v84
	v_add_f16_e32 v12, v12, v82
	v_add_f16_e32 v50, v71, v83
	;; [unrolled: 1-line block ×3, first 2 shown]
	v_pk_add_f16 v3, v13, v3
	v_pk_add_f16 v8, v21, v8
	;; [unrolled: 1-line block ×4, first 2 shown]
	v_bfi_b32 v22, 0xffff, v36, v77
	v_bfi_b32 v23, 0xffff, v29, v74
	v_pk_fma_f16 v24, 0x36a6b93d, v76, v77 neg_lo:[0,0,1] neg_hi:[0,0,1]
	v_pk_add_f16 v2, v2, v79 neg_lo:[0,1] neg_hi:[0,1]
	v_add_f16_e32 v12, v12, v50
	v_add_f16_e32 v25, v43, v84
	;; [unrolled: 1-line block ×3, first 2 shown]
	v_pk_add_f16 v13, v21, v13
	v_pk_add_f16 v21, v22, v23
	;; [unrolled: 1-line block ×4, first 2 shown]
	v_add_f16_e32 v3, v25, v12
	v_add_f16_e32 v12, v77, v74
	v_pk_add_f16 v24, v13, v21
	v_alignbit_b32 v23, v78, v8, 16
	v_pack_b32_f16 v22, v2, v8
	v_bfi_b32 v21, 0xffff, v39, v2
	v_add_f16_e32 v2, v3, v12
	ds_write_b128 v69, v[21:24] offset:1210
	ds_write_b16 v69, v2 offset:1226
	ds_write_b32 v69, v0 offset:1228
.LBB0_15:
	s_or_b32 exec_lo, exec_lo, s0
	v_mad_i32_i24 v8, 0xffffffec, v4, v69
	s_waitcnt lgkmcnt(0)
	s_barrier
	buffer_gl0_inv
	v_cmp_gt_u32_e64 s0, 11, v4
	ds_read_u16 v2, v8
	ds_read_u16 v3, v8 offset:110
	ds_read_u16 v12, v8 offset:220
	;; [unrolled: 1-line block ×19, first 2 shown]
                                        ; implicit-def: $vgpr48
                                        ; implicit-def: $vgpr50
                                        ; implicit-def: $vgpr49
	s_and_saveexec_b32 s4, s0
	s_cbranch_execz .LBB0_17
; %bb.16:
	ds_read_u16 v0, v8 offset:440
	ds_read_u16 v49, v8 offset:1364
	;; [unrolled: 1-line block ×3, first 2 shown]
	s_waitcnt lgkmcnt(2)
	ds_read_u16_d16_hi v0, v8 offset:902
	ds_read_u16 v50, v8 offset:1826
.LBB0_17:
	s_or_b32 exec_lo, exec_lo, s4
	v_add_f16_e32 v70, v1, v67
	v_sub_f16_e32 v54, v54, v58
	v_sub_f16_e32 v52, v52, v55
	;; [unrolled: 1-line block ×3, first 2 shown]
	v_add_f16_e32 v67, v64, v67
	v_add_f16_e32 v58, v70, v66
	;; [unrolled: 1-line block ×3, first 2 shown]
	v_sub_f16_e32 v53, v53, v57
	v_mul_f16_e32 v70, 0xb482, v56
	v_add_f16_e32 v57, v63, v61
	v_add_f16_e32 v55, v58, v65
	v_pk_mul_f16 v75, 0xbb47b853, v56 op_sel_hi:[1,0]
	v_pk_mul_f16 v76, 0xba0cbb47, v54 op_sel_hi:[1,0]
	v_fmamk_f16 v77, v67, 0xbbad, v70
	v_add_f16_e32 v66, v65, v60
	v_add_f16_e32 v55, v55, v63
	v_mul_f16_e32 v63, 0x3853, v54
	v_fma_f16 v80, v67, 0x3abb, -v75
	v_add_f16_e32 v77, v77, v1
	v_add_f16_e32 v58, v68, v62
	;; [unrolled: 1-line block ×3, first 2 shown]
	v_fmamk_f16 v78, v59, 0x3abb, v63
	v_mul_f16_e32 v73, 0xba0c, v53
	v_pk_fma_f16 v75, 0x36a63abb, v67, v75 op_sel_hi:[1,0,1]
	v_mul_f16_e32 v62, 0x3b47, v52
	v_add_f16_e32 v55, v55, v68
	v_pk_mul_f16 v68, 0x3482bbeb, v53 op_sel_hi:[1,0]
	v_add_f16_e32 v77, v78, v77
	v_add_f16_e32 v78, v80, v1
	v_fmamk_f16 v79, v66, 0xb93d, v73
	v_add_f16_e32 v55, v55, v61
	v_fmamk_f16 v61, v57, 0x36a6, v62
	v_sub_f16_e32 v47, v47, v51
	v_mul_f16_e32 v65, 0xbbad, v67
	v_add_f16_e32 v77, v79, v77
	v_add_f16_e32 v55, v55, v60
	v_fma_f16 v60, v59, 0x36a6, -v76
	v_pk_fma_f16 v76, 0xb93d36a6, v59, v76 op_sel_hi:[1,0,1]
	v_pk_mul_f16 v79, 0xb8533b47, v53 op_sel_hi:[1,0]
	v_add_f16_e32 v61, v61, v77
	v_add_f16_e32 v9, v55, v9
	v_pk_add_f16 v55, v75, v1 op_sel_hi:[1,0]
	v_fma_f16 v75, v66, 0xb08e, -v68
	v_add_f16_e32 v60, v60, v78
	v_pk_mul_f16 v78, 0x3beb3482, v54 op_sel_hi:[1,0]
	v_add_f16_e32 v9, v64, v9
	v_pk_add_f16 v55, v76, v55
	v_pk_fma_f16 v64, 0xbbadb08e, v66, v68 op_sel_hi:[1,0,1]
	v_pk_mul_f16 v68, 0x3bebba0c, v52 op_sel_hi:[1,0]
	v_add_f16_e32 v51, v75, v60
	v_pk_mul_f16 v60, 0xba0cbbeb, v56 op_sel_hi:[1,0]
	v_pk_mul_f16 v75, 0x3abbbbad, v58 op_sel_hi:[1,0]
	v_pk_add_f16 v55, v64, v55
	v_fma_f16 v64, v57, 0xb93d, -v68
	v_pk_mul_f16 v76, 0x3853b482, v47 op_sel_hi:[1,0]
	v_pk_fma_f16 v77, 0xb93db08e, v67, v60 op_sel_hi:[1,0,1]
	v_pk_mul_f16 v56, 0x3b473beb, v56 op_sel_hi:[1,0]
	v_pk_mul_f16 v54, 0x3a0cb482, v54 op_sel_hi:[1,0]
	v_add_f16_e32 v51, v64, v51
	v_pk_fma_f16 v64, 0xb08eb93d, v57, v68 op_sel_hi:[1,0,1]
	v_sub_f16_e32 v68, v75, v76
	v_pk_add_f16 v75, v77, v1 op_sel_hi:[1,0]
	v_pk_fma_f16 v77, 0xb08ebbad, v59, v78 op_sel_hi:[1,0,1]
	v_pk_fma_f16 v56, 0x36a6b08e, v67, v56 op_sel_hi:[1,0,1]
	v_pk_add_f16 v64, v64, v55
	v_add_f16_e32 v68, v68, v51
	v_pk_fma_f16 v55, 0x3abb36a6, v66, v79 op_sel_hi:[1,0,1]
	v_pk_add_f16 v51, v77, v75
	v_pk_mul_f16 v75, 0xb482b853, v52 op_sel_hi:[1,0]
	v_pk_mul_f16 v77, 0xb93db08e, v67 op_sel_hi:[1,0]
	v_pk_fma_f16 v54, 0xb93dbbad, v59, v54 op_sel_hi:[1,0,1]
	v_pk_mul_f16 v53, 0xb482bb47, v53 op_sel_hi:[1,0]
	v_pk_add_f16 v51, v55, v51
	v_pk_fma_f16 v55, 0xbbad3abb, v57, v75 op_sel_hi:[1,0,1]
	v_mul_f16_e32 v71, 0x3abb, v59
	v_pk_mul_f16 v80, 0xb08ebbad, v59 op_sel_hi:[1,0]
	v_bfi_b32 v59, 0xffff, v70, v60
	v_pk_fma_f16 v53, 0xbbad36a6, v66, v53 op_sel_hi:[1,0,1]
	v_pk_add_f16 v51, v55, v51
	v_pk_add_f16 v55, v56, v1 op_sel_hi:[1,0]
	v_bfi_b32 v56, 0xffff, v65, v77
	v_pk_mul_f16 v52, 0xbbeb3853, v52 op_sel_hi:[1,0]
	v_mul_f16_e32 v72, 0xb93d, v66
	v_pk_mul_f16 v81, 0x3abb36a6, v66 op_sel_hi:[1,0]
	v_pk_add_f16 v54, v54, v55
	v_pk_add_f16 v55, v56, v59 neg_lo:[0,1] neg_hi:[0,1]
	v_bfi_b32 v56, 0xffff, v71, v80
	v_bfi_b32 v59, 0xffff, v63, v78
	v_pk_fma_f16 v52, 0xb08e3abb, v57, v52 op_sel_hi:[1,0,1]
	v_pk_add_f16 v53, v53, v54
	v_mul_f16_e32 v74, 0x36a6, v57
	v_pk_mul_f16 v67, 0xbbad3abb, v57 op_sel_hi:[1,0]
	v_pk_mul_f16 v60, 0x3b47ba0c, v47 op_sel_hi:[1,0]
	v_pk_add_f16 v1, v55, v1 op_sel_hi:[1,0]
	v_pk_add_f16 v55, v56, v59 neg_lo:[0,1] neg_hi:[0,1]
	v_bfi_b32 v56, 0xffff, v72, v81
	v_bfi_b32 v57, 0xffff, v73, v79
	v_pk_add_f16 v63, v52, v53
	v_sub_f16_e32 v53, v37, v46
	v_pk_mul_f16 v54, 0xb8533a0c, v47 op_sel_hi:[1,0]
	v_pk_fma_f16 v59, 0x36a6b93d, v58, v60 op_sel_hi:[1,0,1]
	v_pk_add_f16 v1, v55, v1
	v_pk_add_f16 v52, v56, v57 neg_lo:[0,1] neg_hi:[0,1]
	v_add_f16_e32 v46, v20, v10
	v_pk_mul_f16 v37, 0xb853bb47, v53 op_sel_hi:[1,0]
	v_sub_f16_e32 v55, v32, v45
	v_pk_fma_f16 v65, 0x3abbb93d, v58, v54 op_sel_hi:[1,0,1]
	v_pk_add_f16 v56, v59, v51
	v_mul_f16_e32 v59, 0xbbeb, v47
	v_pk_add_f16 v1, v52, v1
	v_bfi_b32 v32, 0xffff, v74, v67
	v_bfi_b32 v51, 0xffff, v62, v75
	v_add_f16_e32 v45, v19, v11
	v_pk_fma_f16 v52, 0x3abb36a6, v46, v37 op_sel_hi:[1,0,1] neg_lo:[0,0,1] neg_hi:[0,0,1]
	v_pk_mul_f16 v47, 0xbb47ba0c, v55 op_sel_hi:[1,0]
	v_sub_f16_e32 v54, v31, v40
	v_pk_add_f16 v62, v32, v51 neg_lo:[0,1] neg_hi:[0,1]
	v_add_f16_e32 v51, v18, v14
	v_pk_add_f16 v32, v5, v52 op_sel:[1,0]
	v_pk_fma_f16 v66, 0x36a6b93d, v45, v47 op_sel_hi:[1,0,1] neg_lo:[0,0,1] neg_hi:[0,0,1]
	v_pk_mul_f16 v52, 0xbbeb3482, v54 op_sel_hi:[1,0]
	v_sub_f16_e32 v40, v30, v34
	v_pk_mul_f16 v82, 0x36a6b93d, v58 op_sel_hi:[1,0]
	v_mul_f16_e32 v57, 0xb08e, v58
	v_add_f16_e32 v31, v17, v15
	v_pk_add_f16 v32, v32, v66
	v_pk_fma_f16 v66, 0xb08ebbad, v51, v52 op_sel_hi:[1,0,1] neg_lo:[0,0,1] neg_hi:[0,0,1]
	v_pk_mul_f16 v34, 0xba0c3beb, v40 op_sel_hi:[1,0]
	v_sub_f16_e32 v30, v28, v38
	v_pk_fma_f16 v76, 0x3abbbbad, v58, v76 op_sel_hi:[1,0,1]
	v_bfi_b32 v57, 0xffff, v57, v82
	v_bfi_b32 v38, 0xffff, v59, v60
	v_add_f16_e32 v28, v16, v5
	v_pk_add_f16 v60, v32, v66
	v_pk_fma_f16 v66, 0xb93db08e, v31, v34 op_sel_hi:[1,0,1] neg_lo:[0,0,1] neg_hi:[0,0,1]
	v_pk_mul_f16 v32, 0xb4823853, v30 op_sel_hi:[1,0]
	v_fmamk_f16 v58, v58, 0xb08e, v59
	v_pk_add_f16 v1, v62, v1
	v_pk_add_f16 v38, v57, v38 neg_lo:[0,1] neg_hi:[0,1]
	v_pk_add_f16 v57, v66, v60
	v_pk_fma_f16 v60, 0xbbad3abb, v28, v32 op_sel_hi:[1,0,1] neg_lo:[0,0,1] neg_hi:[0,0,1]
	v_add_f16_e32 v58, v58, v61
	v_pk_add_f16 v61, v76, v64
	v_pk_add_f16 v59, v38, v1
	;; [unrolled: 1-line block ×4, first 2 shown]
	v_alignbit_b32 v58, v58, v56, 16
	v_alignbit_b32 v57, v56, v61, 16
	v_pack_b32_f16 v56, v9, v61
	v_add_nc_u32_e32 v9, 55, v4
	s_waitcnt lgkmcnt(0)
	s_barrier
	buffer_gl0_inv
	ds_write_b128 v69, v[56:59]
	ds_write_b32 v69, v62 offset:16
	ds_write_b16 v69, v68 offset:20
	s_and_saveexec_b32 s4, s1
	s_cbranch_execz .LBB0_19
; %bb.18:
	v_add_f16_sdwa v20, v5, v20 dst_sel:DWORD dst_unused:UNUSED_PAD src0_sel:WORD_1 src1_sel:DWORD
	v_pk_mul_f16 v56, 0x3abb36a6, v46 op_sel_hi:[1,0]
	v_pk_mul_f16 v60, 0x36a6b93d, v45 op_sel_hi:[1,0]
	v_bfi_b32 v16, 0xffff, v16, v37
	v_pk_mul_f16 v63, 0xb08ebbad, v51 op_sel_hi:[1,0]
	v_add_f16_e32 v19, v20, v19
	v_pack_b32_f16 v57, v53, v53
	v_pk_mul_f16 v65, 0xb93db08e, v31 op_sel_hi:[1,0]
	v_add_f16_e32 v37, v56, v37
	v_pk_add_f16 v52, v63, v52
	v_add_f16_e32 v18, v19, v18
	v_pack_b32_f16 v38, v46, v46
	v_pack_b32_f16 v61, v55, v55
	v_perm_b32 v58, v5, v5, 0x7060302
	v_bfi_b32 v14, 0xffff, v14, v52
	v_add_f16_e32 v17, v18, v17
	v_pk_mul_f16 v18, 0xbbad3abb, v28 op_sel_hi:[1,0]
	v_pack_b32_f16 v59, v45, v45
	v_pack_b32_f16 v20, v54, v54
	;; [unrolled: 1-line block ×3, first 2 shown]
	v_bfi_b32 v17, 0xffff, v17, v56
	v_mul_f16_e32 v53, 0xb482, v53
	v_pack_b32_f16 v19, v40, v40
	v_pk_mul_f16 v20, 0xb8533b47, v20
	v_pack_b32_f16 v64, v31, v31
	v_pk_add_f16 v16, v17, v16
	v_pk_add_f16 v17, v60, v47
	v_fmamk_f16 v66, v46, 0xbbad, v53
	v_mul_f16_e32 v55, 0x3853, v55
	v_mul_f16_e32 v46, 0xbbad, v46
	v_pk_add_f16 v16, v16, v5
	v_bfi_b32 v15, 0xffff, v15, v17
	v_add_f16_sdwa v66, v5, v66 dst_sel:DWORD dst_unused:UNUSED_PAD src0_sel:WORD_1 src1_sel:DWORD
	v_fmamk_f16 v68, v45, 0x3abb, v55
	v_mul_f16_e32 v45, 0x3abb, v45
	v_mul_f16_e32 v54, 0xba0c, v54
	v_pk_add_f16 v15, v15, v16
	v_pk_add_f16 v16, v65, v34
	v_add_f16_sdwa v34, v5, v37 dst_sel:DWORD dst_unused:UNUSED_PAD src0_sel:WORD_1 src1_sel:DWORD
	v_pk_mul_f16 v37, 0xba0cbbeb, v57
	v_mul_f16_e32 v47, 0xb93d, v51
	v_pk_add_f16 v14, v14, v15
	v_bfi_b32 v11, 0xffff, v11, v16
	v_pk_add_f16 v15, v18, v32
	v_add_f16_e32 v17, v34, v17
	v_pk_fma_f16 v18, 0xb93db08e, v38, v37
	v_pk_mul_f16 v32, 0x3beb3482, v61
	v_pk_add_f16 v11, v11, v14
	v_bfi_b32 v10, 0xffff, v10, v15
	v_add_f16_e32 v17, v17, v52
	v_pk_add_f16 v18, v58, v18
	v_pk_fma_f16 v34, 0xb08ebbad, v59, v32
	v_pack_b32_f16 v67, v28, v28
	v_pk_add_f16 v14, v10, v11
	v_add_f16_e32 v10, v16, v17
	v_pk_fma_f16 v16, 0x3abb36a6, v62, v20
	v_pk_add_f16 v11, v18, v34
	v_pk_mul_f16 v17, 0xb482b853, v19
	v_pk_mul_f16 v18, 0xb93db08e, v38
	v_add_f16_e32 v10, v10, v15
	v_pk_mul_f16 v15, 0xb08ebbad, v59
	v_pk_add_f16 v11, v11, v16
	v_pk_fma_f16 v16, 0xbbad3abb, v64, v17
	v_bfi_b32 v19, 0xffff, v46, v18
	v_bfi_b32 v34, 0xffff, v53, v37
	v_pk_mul_f16 v38, 0x3abb36a6, v62
	v_pack_b32_f16 v69, v30, v30
	v_pk_add_f16 v11, v16, v11
	v_sub_f16_e32 v16, v18, v37
	v_pk_add_f16 v18, v19, v34 neg_lo:[0,1] neg_hi:[0,1]
	v_bfi_b32 v19, 0xffff, v45, v15
	v_bfi_b32 v34, 0xffff, v55, v32
	v_add_f16_e32 v66, v66, v68
	v_fmamk_f16 v68, v51, 0xb93d, v54
	v_mul_f16_e32 v60, 0x36a6, v31
	v_mul_f16_e32 v40, 0x3b47, v40
	v_pk_mul_f16 v46, 0xbbad3abb, v64
	v_sub_f16_e32 v15, v15, v32
	v_add_f16_sdwa v5, v5, v16 dst_sel:DWORD dst_unused:UNUSED_PAD src0_sel:WORD_1 src1_sel:DWORD
	v_pk_add_f16 v16, v58, v18
	v_pk_add_f16 v18, v19, v34 neg_lo:[0,1] neg_hi:[0,1]
	v_bfi_b32 v19, 0xffff, v47, v38
	v_bfi_b32 v32, 0xffff, v54, v20
	v_add_f16_e32 v51, v66, v68
	v_fmamk_f16 v31, v31, 0x36a6, v40
	v_pk_mul_f16 v37, 0x3b47ba0c, v69
	v_pk_mul_f16 v34, 0x36a6b93d, v67
	v_add_f16_e32 v5, v5, v15
	v_pk_add_f16 v15, v16, v18
	v_pk_add_f16 v16, v19, v32 neg_lo:[0,1] neg_hi:[0,1]
	v_bfi_b32 v18, 0xffff, v60, v46
	v_bfi_b32 v19, 0xffff, v40, v17
	v_mul_f16_e32 v32, 0xb08e, v28
	v_mul_f16_e32 v30, 0xbbeb, v30
	v_sub_f16_e32 v20, v38, v20
	v_add_f16_e32 v31, v31, v51
	v_pk_fma_f16 v45, 0x36a6b93d, v67, v37
	v_pk_add_f16 v15, v15, v16
	v_pk_add_f16 v16, v18, v19 neg_lo:[0,1] neg_hi:[0,1]
	v_bfi_b32 v18, 0xffff, v32, v34
	v_bfi_b32 v19, 0xffff, v30, v37
	v_add_f16_e32 v5, v5, v20
	v_fmamk_f16 v20, v28, 0xb08e, v30
	v_sub_f16_e32 v17, v46, v17
	v_pk_add_f16 v15, v16, v15
	v_pk_add_f16 v16, v18, v19 neg_lo:[0,1] neg_hi:[0,1]
	v_pk_add_f16 v11, v11, v45
	v_add_f16_e32 v18, v31, v20
	v_add_f16_e32 v5, v17, v5
	v_sub_f16_e32 v19, v34, v37
	v_pk_add_f16 v17, v15, v16
	v_mad_u32_u24 v20, v9, 22, 0
	v_alignbit_b32 v16, v18, v11, 16
	v_pack_b32_f16 v15, v10, v11
	v_add_f16_e32 v5, v5, v19
	ds_write_b128 v20, v[14:17]
	ds_write_b16 v20, v5 offset:16
	ds_write_b32 v20, v1 offset:18
.LBB0_19:
	s_or_b32 exec_lo, exec_lo, s4
	s_waitcnt lgkmcnt(0)
	s_barrier
	buffer_gl0_inv
	ds_read_u16 v14, v8
	ds_read_u16 v15, v8 offset:110
	ds_read_u16 v16, v8 offset:220
	;; [unrolled: 1-line block ×19, first 2 shown]
                                        ; implicit-def: $vgpr67
                                        ; implicit-def: $vgpr46
                                        ; implicit-def: $vgpr40
	s_and_saveexec_b32 s1, s0
	s_cbranch_execz .LBB0_21
; %bb.20:
	ds_read_u16 v1, v8 offset:440
	ds_read_u16 v40, v8 offset:1364
	;; [unrolled: 1-line block ×3, first 2 shown]
	s_waitcnt lgkmcnt(2)
	ds_read_u16_d16_hi v1, v8 offset:902
	ds_read_u16 v46, v8 offset:1826
.LBB0_21:
	s_or_b32 exec_lo, exec_lo, s1
	v_and_b32_e32 v10, 0xff, v4
	v_add_nc_u32_e32 v5, 0xdc, v4
	v_mov_b32_e32 v11, 0xba2f
	v_and_b32_e32 v18, 0xff, v9
	v_mov_b32_e32 v72, 1
	v_mul_lo_u16 v10, 0x75, v10
	v_lshrrev_b32_e32 v89, 16, v0
	v_mul_u32_u24_sdwa v11, v5, v11 dst_sel:DWORD dst_unused:UNUSED_PAD src0_sel:WORD_0 src1_sel:DWORD
	s_waitcnt lgkmcnt(1)
	v_lshrrev_b32_e32 v90, 16, v1
	v_lshrrev_b16 v28, 8, v10
	v_mul_lo_u16 v10, 0x75, v18
	v_lshrrev_b32_e32 v11, 19, v11
	v_sub_nc_u16 v18, v4, v28
	v_lshrrev_b16 v30, 8, v10
	v_mul_lo_u16 v10, v11, 11
	v_lshrrev_b16 v11, 1, v18
	v_sub_nc_u16 v18, v9, v30
	v_sub_nc_u16 v31, v5, v10
	v_add_nc_u32_e32 v10, 0x6e, v4
	v_and_b32_e32 v11, 0x7f, v11
	v_lshrrev_b16 v32, 1, v18
	v_and_b32_e32 v31, 0xffff, v31
	v_and_b32_e32 v18, 0xff, v10
	v_add_nc_u16 v28, v11, v28
	v_add_nc_u32_e32 v11, 0xa5, v4
	v_and_b32_e32 v32, 0x7f, v32
	v_mul_lo_u16 v38, 0x75, v18
	v_lshlrev_b32_e32 v34, 4, v31
	v_lshrrev_b16 v28, 3, v28
	v_and_b32_e32 v37, 0xff, v11
	v_add_nc_u16 v30, v32, v30
	v_lshrrev_b16 v38, 8, v38
	global_load_dwordx4 v[68:71], v34, s[8:9]
	v_mul_lo_u16 v32, v28, 11
	v_mul_lo_u16 v37, 0x75, v37
	v_lshrrev_b16 v30, 3, v30
	v_sub_nc_u16 v45, v10, v38
	v_mov_b32_e32 v34, 4
	v_sub_nc_u16 v32, v4, v32
	v_lshrrev_b16 v37, 8, v37
	v_mul_lo_u16 v47, v30, 11
	v_lshrrev_b16 v45, 1, v45
	v_lshlrev_b32_sdwa v51, v34, v32 dst_sel:DWORD dst_unused:UNUSED_PAD src0_sel:DWORD src1_sel:BYTE_0
	v_sub_nc_u16 v52, v11, v37
	v_sub_nc_u16 v47, v9, v47
	v_and_b32_e32 v45, 0x7f, v45
	v_lshlrev_b32_sdwa v32, v72, v32 dst_sel:DWORD dst_unused:UNUSED_PAD src0_sel:DWORD src1_sel:BYTE_0
	global_load_dwordx4 v[73:76], v51, s[8:9]
	v_lshrrev_b16 v52, 1, v52
	v_lshlrev_b32_sdwa v51, v34, v47 dst_sel:DWORD dst_unused:UNUSED_PAD src0_sel:DWORD src1_sel:BYTE_0
	v_add_nc_u16 v38, v45, v38
	v_lshlrev_b32_sdwa v47, v72, v47 dst_sel:DWORD dst_unused:UNUSED_PAD src0_sel:DWORD src1_sel:BYTE_0
	v_and_b32_e32 v45, 0x7f, v52
	global_load_dwordx4 v[77:80], v51, s[8:9]
	v_lshrrev_b16 v38, 3, v38
	v_add_nc_u16 v37, v45, v37
	v_mul_lo_u16 v45, v38, 11
	v_lshrrev_b16 v37, 3, v37
	v_sub_nc_u16 v45, v10, v45
	v_mul_lo_u16 v51, v37, 11
	v_lshlrev_b32_sdwa v52, v34, v45 dst_sel:DWORD dst_unused:UNUSED_PAD src0_sel:DWORD src1_sel:BYTE_0
	v_sub_nc_u16 v51, v11, v51
	global_load_dwordx4 v[81:84], v52, s[8:9]
	v_lshlrev_b32_sdwa v34, v34, v51 dst_sel:DWORD dst_unused:UNUSED_PAD src0_sel:DWORD src1_sel:BYTE_0
	global_load_dwordx4 v[85:88], v34, s[8:9]
	v_mov_b32_e32 v34, 0x6e
	s_waitcnt vmcnt(0) lgkmcnt(0)
	s_barrier
	buffer_gl0_inv
	v_mul_u32_u24_sdwa v52, v28, v34 dst_sel:DWORD dst_unused:UNUSED_PAD src0_sel:WORD_0 src1_sel:DWORD
	v_mul_u32_u24_sdwa v30, v30, v34 dst_sel:DWORD dst_unused:UNUSED_PAD src0_sel:WORD_0 src1_sel:DWORD
	v_lshl_add_u32 v28, v31, 1, 0
	v_mul_u32_u24_sdwa v31, v38, v34 dst_sel:DWORD dst_unused:UNUSED_PAD src0_sel:WORD_0 src1_sel:DWORD
	v_mul_u32_u24_sdwa v34, v37, v34 dst_sel:DWORD dst_unused:UNUSED_PAD src0_sel:WORD_0 src1_sel:DWORD
	v_add3_u32 v52, 0, v52, v32
	v_add3_u32 v47, 0, v30, v47
	v_lshlrev_b32_sdwa v30, v72, v45 dst_sel:DWORD dst_unused:UNUSED_PAD src0_sel:DWORD src1_sel:BYTE_0
	v_lshlrev_b32_sdwa v32, v72, v51 dst_sel:DWORD dst_unused:UNUSED_PAD src0_sel:DWORD src1_sel:BYTE_0
	v_add3_u32 v51, 0, v31, v30
	v_add3_u32 v45, 0, v34, v32
	v_mul_f16_sdwa v37, v90, v68 dst_sel:DWORD dst_unused:UNUSED_PAD src0_sel:DWORD src1_sel:WORD_1
	v_mul_f16_sdwa v31, v89, v68 dst_sel:DWORD dst_unused:UNUSED_PAD src0_sel:DWORD src1_sel:WORD_1
	v_mul_f16_sdwa v38, v40, v69 dst_sel:DWORD dst_unused:UNUSED_PAD src0_sel:DWORD src1_sel:WORD_1
	v_mul_f16_sdwa v32, v49, v69 dst_sel:DWORD dst_unused:UNUSED_PAD src0_sel:DWORD src1_sel:WORD_1
	v_mul_f16_sdwa v72, v46, v70 dst_sel:DWORD dst_unused:UNUSED_PAD src0_sel:DWORD src1_sel:WORD_1
	v_mul_f16_sdwa v34, v50, v70 dst_sel:DWORD dst_unused:UNUSED_PAD src0_sel:DWORD src1_sel:WORD_1
	v_mul_f16_sdwa v91, v67, v71 dst_sel:DWORD dst_unused:UNUSED_PAD src0_sel:DWORD src1_sel:WORD_1
	v_mul_f16_sdwa v30, v48, v71 dst_sel:DWORD dst_unused:UNUSED_PAD src0_sel:DWORD src1_sel:WORD_1
	v_fma_f16 v37, v89, v68, -v37
	v_fmac_f16_e32 v31, v90, v68
	v_fma_f16 v38, v49, v69, -v38
	v_fmac_f16_e32 v32, v40, v69
	;; [unrolled: 2-line block ×4, first 2 shown]
	v_mul_f16_sdwa v72, v64, v73 dst_sel:DWORD dst_unused:UNUSED_PAD src0_sel:DWORD src1_sel:WORD_1
	v_mul_f16_sdwa v70, v42, v73 dst_sel:DWORD dst_unused:UNUSED_PAD src0_sel:DWORD src1_sel:WORD_1
	;; [unrolled: 1-line block ×16, first 2 shown]
	v_fma_f16 v72, v42, v73, -v72
	v_fmac_f16_e32 v70, v64, v73
	v_fma_f16 v73, v36, v74, -v89
	v_fmac_f16_e32 v71, v61, v74
	;; [unrolled: 2-line block ×8, first 2 shown]
	v_mul_f16_sdwa v59, v54, v81 dst_sel:DWORD dst_unused:UNUSED_PAD src0_sel:DWORD src1_sel:WORD_1
	v_mul_f16_sdwa v41, v24, v81 dst_sel:DWORD dst_unused:UNUSED_PAD src0_sel:DWORD src1_sel:WORD_1
	;; [unrolled: 1-line block ×16, first 2 shown]
	v_fma_f16 v59, v24, v81, -v59
	v_fmac_f16_e32 v41, v54, v81
	v_fma_f16 v24, v21, v82, -v63
	v_fmac_f16_e32 v42, v19, v82
	;; [unrolled: 2-line block ×6, first 2 shown]
	v_fma_f16 v20, v23, v87, -v78
	v_fma_f16 v22, v26, v88, -v79
	v_fmac_f16_e32 v33, v56, v88
	v_add_f16_e32 v25, v73, v74
	v_sub_f16_e32 v54, v72, v73
	v_sub_f16_e32 v55, v65, v74
	v_add_f16_e32 v56, v72, v65
	v_sub_f16_e32 v57, v73, v72
	v_sub_f16_e32 v58, v74, v65
	v_add_f16_e32 v63, v3, v64
	v_add_f16_e32 v66, v60, v61
	v_sub_f16_e32 v77, v64, v60
	v_sub_f16_e32 v78, v62, v61
	v_add_f16_e32 v79, v64, v62
	v_sub_f16_e32 v80, v60, v64
	v_sub_f16_e32 v81, v61, v62
	v_fmac_f16_e32 v39, v53, v87
	v_add_f16_e32 v23, v2, v72
	v_sub_f16_e32 v26, v70, v69
	v_sub_f16_e32 v53, v71, v68
	;; [unrolled: 1-line block ×4, first 2 shown]
	v_fma_f16 v25, -0.5, v25, v2
	v_add_f16_e32 v54, v54, v55
	v_fmac_f16_e32 v2, -0.5, v56
	v_add_f16_e32 v55, v57, v58
	v_add_f16_e32 v56, v63, v60
	v_fma_f16 v57, -0.5, v66, v3
	v_add_f16_e32 v58, v77, v78
	v_fmac_f16_e32 v3, -0.5, v79
	v_add_f16_e32 v63, v80, v81
	v_add_f16_e32 v66, v12, v59
	;; [unrolled: 1-line block ×3, first 2 shown]
	v_sub_f16_e32 v80, v59, v24
	v_sub_f16_e32 v81, v29, v27
	v_add_f16_e32 v82, v59, v29
	v_sub_f16_e32 v83, v24, v59
	v_sub_f16_e32 v84, v27, v29
	v_add_f16_e32 v85, v13, v21
	v_add_f16_e32 v86, v19, v20
	v_sub_f16_e32 v89, v21, v19
	v_sub_f16_e32 v90, v22, v20
	v_add_f16_e32 v91, v21, v22
	v_add_f16_e32 v23, v23, v73
	v_sub_f16_e32 v78, v41, v44
	v_sub_f16_e32 v79, v42, v43
	v_sub_f16_e32 v87, v35, v33
	v_sub_f16_e32 v88, v36, v39
	v_add_f16_e32 v80, v80, v81
	v_fma_f16 v77, -0.5, v77, v12
	v_fmac_f16_e32 v12, -0.5, v82
	v_add_f16_e32 v81, v83, v84
	v_add_f16_e32 v82, v89, v90
	v_fmamk_f16 v83, v26, 0x3b9c, v25
	v_fmac_f16_e32 v25, 0xbb9c, v26
	v_fma_f16 v84, -0.5, v86, v13
	v_fmac_f16_e32 v13, -0.5, v91
	v_fmamk_f16 v86, v53, 0xbb9c, v2
	v_fmac_f16_e32 v2, 0x3b9c, v53
	v_add_f16_e32 v56, v56, v61
	v_fmamk_f16 v90, v75, 0x3b9c, v57
	v_fmac_f16_e32 v57, 0xbb9c, v75
	v_fmamk_f16 v91, v76, 0xbb9c, v3
	v_fmac_f16_e32 v3, 0x3b9c, v76
	v_add_f16_e32 v66, v66, v24
	v_add_f16_e32 v85, v85, v19
	v_sub_f16_e32 v92, v19, v21
	v_sub_f16_e32 v93, v20, v22
	v_add_f16_e32 v23, v23, v74
	v_fmac_f16_e32 v83, 0x38b4, v53
	v_fmac_f16_e32 v25, 0xb8b4, v53
	;; [unrolled: 1-line block ×4, first 2 shown]
	v_add_f16_e32 v26, v56, v62
	v_fmac_f16_e32 v90, 0x38b4, v76
	v_fmac_f16_e32 v57, 0xb8b4, v76
	;; [unrolled: 1-line block ×4, first 2 shown]
	v_add_f16_e32 v53, v66, v27
	v_fmamk_f16 v56, v78, 0x3b9c, v77
	v_fmac_f16_e32 v77, 0xbb9c, v78
	v_fmamk_f16 v66, v79, 0xbb9c, v12
	v_fmac_f16_e32 v12, 0x3b9c, v79
	v_add_f16_e32 v75, v85, v20
	v_fmamk_f16 v76, v87, 0x3b9c, v84
	v_fmac_f16_e32 v84, 0xbb9c, v87
	v_fmamk_f16 v85, v88, 0xbb9c, v13
	v_fmac_f16_e32 v13, 0x3b9c, v88
	v_add_f16_e32 v89, v92, v93
	v_add_f16_e32 v23, v23, v65
	v_fmac_f16_e32 v83, 0x34f2, v54
	v_fmac_f16_e32 v56, 0x38b4, v79
	;; [unrolled: 1-line block ×16, first 2 shown]
	v_add_f16_e32 v53, v53, v29
	v_add_f16_e32 v54, v75, v22
	ds_write_b16 v52, v23
	v_fmac_f16_e32 v56, 0x34f2, v80
	v_fmac_f16_e32 v77, 0x34f2, v80
	;; [unrolled: 1-line block ×8, first 2 shown]
	ds_write_b16 v52, v83 offset:22
	ds_write_b16 v52, v86 offset:44
	ds_write_b16 v52, v2 offset:66
	ds_write_b16 v52, v25 offset:88
	ds_write_b16 v47, v26
	ds_write_b16 v47, v90 offset:22
	ds_write_b16 v47, v91 offset:44
	ds_write_b16 v47, v3 offset:66
	ds_write_b16 v47, v57 offset:88
	ds_write_b16 v51, v53
	;; [unrolled: 5-line block ×3, first 2 shown]
	ds_write_b16 v45, v76 offset:22
	ds_write_b16 v45, v85 offset:44
	;; [unrolled: 1-line block ×4, first 2 shown]
	s_and_saveexec_b32 s1, s0
	s_cbranch_execz .LBB0_23
; %bb.22:
	v_add_f16_e32 v2, v37, v46
	v_add_f16_e32 v12, v38, v40
	v_sub_f16_e32 v25, v31, v30
	v_sub_f16_e32 v23, v32, v34
	v_sub_f16_e32 v3, v38, v37
	v_fma_f16 v2, -0.5, v2, v0
	v_fma_f16 v12, -0.5, v12, v0
	v_add_f16_e32 v0, v0, v37
	v_sub_f16_e32 v13, v40, v46
	v_sub_f16_e32 v26, v37, v38
	;; [unrolled: 1-line block ×3, first 2 shown]
	v_fmamk_f16 v55, v25, 0xbb9c, v12
	v_add_f16_e32 v0, v0, v38
	v_fmac_f16_e32 v12, 0x3b9c, v25
	v_fmamk_f16 v53, v23, 0x3b9c, v2
	v_fmac_f16_e32 v2, 0xbb9c, v23
	v_add_f16_e32 v3, v3, v13
	v_add_f16_e32 v0, v0, v40
	;; [unrolled: 1-line block ×3, first 2 shown]
	v_fmac_f16_e32 v12, 0x38b4, v23
	v_fmac_f16_e32 v2, 0x38b4, v25
	;; [unrolled: 1-line block ×4, first 2 shown]
	v_add_f16_e32 v0, v0, v46
	v_fmac_f16_e32 v12, 0x34f2, v13
	v_fmac_f16_e32 v2, 0x34f2, v3
	;; [unrolled: 1-line block ×4, first 2 shown]
	ds_write_b16 v28, v0 offset:2200
	ds_write_b16 v28, v12 offset:2222
	;; [unrolled: 1-line block ×5, first 2 shown]
.LBB0_23:
	s_or_b32 exec_lo, exec_lo, s1
	v_add_f16_e32 v0, v71, v68
	v_sub_f16_e32 v3, v72, v65
	v_add_f16_e32 v25, v70, v69
	v_add_f16_e32 v2, v14, v70
	v_sub_f16_e32 v12, v73, v74
	v_fma_f16 v0, -0.5, v0, v14
	v_sub_f16_e32 v13, v70, v71
	v_fmac_f16_e32 v14, -0.5, v25
	v_add_f16_e32 v25, v15, v48
	v_sub_f16_e32 v23, v69, v68
	v_fmamk_f16 v53, v3, 0xbb9c, v0
	v_fmac_f16_e32 v0, 0x3b9c, v3
	v_fmamk_f16 v54, v12, 0x3b9c, v14
	v_add_f16_e32 v55, v49, v50
	v_fmac_f16_e32 v14, 0xbb9c, v12
	v_fmac_f16_e32 v53, 0xb8b4, v12
	;; [unrolled: 1-line block ×3, first 2 shown]
	v_add_f16_e32 v12, v25, v49
	v_sub_f16_e32 v26, v71, v70
	v_add_f16_e32 v13, v13, v23
	v_sub_f16_e32 v23, v68, v69
	v_fmac_f16_e32 v54, 0xb8b4, v3
	v_fma_f16 v55, -0.5, v55, v15
	v_sub_f16_e32 v25, v64, v62
	v_fmac_f16_e32 v14, 0x38b4, v3
	v_add_f16_e32 v3, v12, v50
	v_add_f16_e32 v12, v48, v67
	v_fmac_f16_e32 v53, 0x34f2, v13
	v_add_f16_e32 v23, v26, v23
	v_fmac_f16_e32 v0, 0x34f2, v13
	v_fmamk_f16 v56, v25, 0xbb9c, v55
	v_sub_f16_e32 v13, v60, v61
	v_sub_f16_e32 v26, v48, v49
	;; [unrolled: 1-line block ×3, first 2 shown]
	v_fmac_f16_e32 v15, -0.5, v12
	v_fmac_f16_e32 v55, 0x3b9c, v25
	v_fmac_f16_e32 v54, 0x34f2, v23
	;; [unrolled: 1-line block ×4, first 2 shown]
	v_add_f16_e32 v12, v26, v57
	v_fmamk_f16 v57, v13, 0x3b9c, v15
	v_sub_f16_e32 v23, v49, v48
	v_sub_f16_e32 v26, v50, v67
	v_fmac_f16_e32 v55, 0x38b4, v13
	v_add_f16_e32 v48, v42, v43
	v_fmac_f16_e32 v15, 0xbb9c, v13
	v_add_f16_e32 v13, v16, v41
	;; [unrolled: 2-line block ×3, first 2 shown]
	v_fma_f16 v50, -0.5, v48, v16
	v_sub_f16_e32 v26, v59, v29
	v_fmac_f16_e32 v55, 0x34f2, v12
	v_add_f16_e32 v12, v13, v42
	v_fmac_f16_e32 v57, 0xb8b4, v25
	v_fmac_f16_e32 v15, 0x38b4, v25
	v_fmamk_f16 v58, v26, 0xbb9c, v50
	v_sub_f16_e32 v13, v24, v27
	v_sub_f16_e32 v24, v41, v42
	;; [unrolled: 1-line block ×3, first 2 shown]
	v_fmac_f16_e32 v50, 0x3b9c, v26
	v_add_f16_e32 v27, v41, v44
	v_add_f16_e32 v12, v12, v43
	v_fmac_f16_e32 v58, 0xb8b4, v13
	v_add_f16_e32 v24, v24, v25
	v_fmac_f16_e32 v50, 0x38b4, v13
	v_fmac_f16_e32 v16, -0.5, v27
	v_add_f16_e32 v59, v12, v44
	v_add_f16_e32 v12, v36, v39
	v_fmac_f16_e32 v57, 0x34f2, v23
	v_fmac_f16_e32 v15, 0x34f2, v23
	;; [unrolled: 1-line block ×4, first 2 shown]
	v_fmamk_f16 v60, v13, 0x3b9c, v16
	v_sub_f16_e32 v23, v42, v41
	v_sub_f16_e32 v24, v43, v44
	v_fmac_f16_e32 v16, 0xbb9c, v13
	v_fma_f16 v61, -0.5, v12, v17
	v_sub_f16_e32 v12, v21, v22
	v_add_f16_e32 v22, v35, v33
	v_add_f16_e32 v13, v17, v35
	v_fmac_f16_e32 v60, 0xb8b4, v26
	v_add_f16_e32 v21, v23, v24
	v_fmac_f16_e32 v16, 0x38b4, v26
	v_sub_f16_e32 v19, v19, v20
	v_fmac_f16_e32 v17, -0.5, v22
	v_add_f16_e32 v13, v13, v36
	v_fmamk_f16 v62, v12, 0xbb9c, v61
	v_fmac_f16_e32 v60, 0x34f2, v21
	v_fmac_f16_e32 v16, 0x34f2, v21
	v_sub_f16_e32 v20, v35, v36
	v_sub_f16_e32 v21, v33, v39
	v_fmac_f16_e32 v61, 0x3b9c, v12
	v_fmamk_f16 v63, v19, 0x3b9c, v17
	v_sub_f16_e32 v22, v36, v35
	v_sub_f16_e32 v23, v39, v33
	v_fmac_f16_e32 v17, 0xbb9c, v19
	v_add_f16_e32 v13, v13, v39
	v_fmac_f16_e32 v62, 0xb8b4, v19
	v_add_f16_e32 v20, v20, v21
	v_fmac_f16_e32 v61, 0x38b4, v19
	v_fmac_f16_e32 v63, 0xb8b4, v12
	v_add_f16_e32 v19, v22, v23
	v_fmac_f16_e32 v17, 0x38b4, v12
	v_add_f16_e32 v64, v13, v33
	v_fmac_f16_e32 v62, 0x34f2, v20
	v_fmac_f16_e32 v61, 0x34f2, v20
	;; [unrolled: 1-line block ×4, first 2 shown]
	s_waitcnt lgkmcnt(0)
	s_barrier
	buffer_gl0_inv
	v_lshl_add_u32 v12, v4, 1, 0
	ds_read_u16 v26, v8
	ds_read_u16 v23, v8 offset:110
	ds_read_u16 v36, v8 offset:440
	;; [unrolled: 1-line block ×20, first 2 shown]
	v_add_f16_e32 v2, v2, v71
	v_add_f16_e32 v3, v3, v67
	s_waitcnt lgkmcnt(0)
	s_barrier
	buffer_gl0_inv
	v_add_f16_e32 v2, v2, v68
	v_add_f16_e32 v2, v2, v69
	ds_write_b16 v52, v2
	ds_write_b16 v52, v53 offset:22
	ds_write_b16 v52, v54 offset:44
	ds_write_b16 v52, v14 offset:66
	ds_write_b16 v52, v0 offset:88
	ds_write_b16 v47, v3
	ds_write_b16 v47, v56 offset:22
	ds_write_b16 v47, v57 offset:44
	ds_write_b16 v47, v15 offset:66
	ds_write_b16 v47, v55 offset:88
	;; [unrolled: 5-line block ×4, first 2 shown]
	s_and_saveexec_b32 s1, s0
	s_cbranch_execz .LBB0_25
; %bb.24:
	v_add_f16_e32 v0, v32, v34
	v_add_f16_e32 v2, v1, v31
	;; [unrolled: 1-line block ×3, first 2 shown]
	v_sub_f16_e32 v3, v37, v46
	v_sub_f16_e32 v14, v38, v40
	v_fma_f16 v0, -0.5, v0, v1
	v_add_f16_e32 v2, v2, v32
	v_fmac_f16_e32 v1, -0.5, v15
	v_sub_f16_e32 v16, v31, v32
	v_sub_f16_e32 v17, v30, v34
	v_fmamk_f16 v15, v3, 0xbb9c, v0
	v_sub_f16_e32 v31, v32, v31
	v_sub_f16_e32 v32, v34, v30
	v_add_f16_e32 v2, v2, v34
	v_fmamk_f16 v34, v14, 0x3b9c, v1
	v_fmac_f16_e32 v1, 0xbb9c, v14
	v_fmac_f16_e32 v0, 0x3b9c, v3
	;; [unrolled: 1-line block ×3, first 2 shown]
	v_add_f16_e32 v16, v16, v17
	v_fmac_f16_e32 v34, 0xb8b4, v3
	v_add_f16_e32 v17, v31, v32
	v_fmac_f16_e32 v1, 0x38b4, v3
	v_fmac_f16_e32 v0, 0x38b4, v14
	v_add_f16_e32 v2, v2, v30
	v_fmac_f16_e32 v15, 0x34f2, v16
	v_fmac_f16_e32 v34, 0x34f2, v17
	;; [unrolled: 1-line block ×4, first 2 shown]
	ds_write_b16 v28, v2 offset:2200
	ds_write_b16 v28, v15 offset:2222
	;; [unrolled: 1-line block ×5, first 2 shown]
.LBB0_25:
	s_or_b32 exec_lo, exec_lo, s1
	v_mul_u32_u24_e32 v0, 6, v4
	s_waitcnt lgkmcnt(0)
	s_barrier
	buffer_gl0_inv
	v_lshlrev_b32_e32 v0, 2, v0
	s_clause 0x1
	global_load_dwordx4 v[50:53], v0, s[8:9] offset:176
	global_load_dwordx2 v[15:16], v0, s[8:9] offset:192
	v_mul_lo_u16 v0, 0x95, v18
	v_lshrrev_b16 v0, 13, v0
	v_mul_lo_u16 v0, v0, 55
	v_sub_nc_u16 v0, v10, v0
	v_and_b32_e32 v28, 0xff, v0
	v_mul_u32_u24_e32 v0, 6, v28
	v_lshl_add_u32 v64, v28, 1, 0
	v_lshlrev_b32_e32 v14, 2, v0
	s_clause 0x1
	global_load_dwordx4 v[0:3], v14, s[8:9] offset:176
	global_load_dwordx2 v[17:18], v14, s[8:9] offset:192
	ds_read_u16 v30, v12 offset:660
	ds_read_u16 v31, v8
	ds_read_u16 v32, v8 offset:110
	ds_read_u16 v34, v8 offset:330
	;; [unrolled: 1-line block ×19, first 2 shown]
	s_waitcnt vmcnt(0) lgkmcnt(0)
	s_barrier
	buffer_gl0_inv
	v_mul_f16_sdwa v28, v34, v50 dst_sel:DWORD dst_unused:UNUSED_PAD src0_sel:DWORD src1_sel:WORD_1
	v_mul_f16_sdwa v65, v44, v50 dst_sel:DWORD dst_unused:UNUSED_PAD src0_sel:DWORD src1_sel:WORD_1
	;; [unrolled: 1-line block ×24, first 2 shown]
	v_fma_f16 v28, v44, v50, -v28
	v_fmac_f16_e32 v65, v34, v50
	v_fma_f16 v34, v49, v51, -v66
	v_fmac_f16_e32 v67, v30, v51
	v_fma_f16 v30, v41, v52, -v68
	v_fma_f16 v41, v42, v15, -v72
	;; [unrolled: 1-line block ×3, first 2 shown]
	v_fmac_f16_e32 v77, v37, v50
	v_fmac_f16_e32 v79, v58, v51
	;; [unrolled: 1-line block ×6, first 2 shown]
	v_fma_f16 v36, v36, v50, -v76
	v_fma_f16 v37, v39, v51, -v78
	;; [unrolled: 1-line block ×4, first 2 shown]
	v_fmac_f16_e32 v69, v38, v52
	v_fma_f16 v38, v43, v53, -v70
	v_fmac_f16_e32 v71, v45, v53
	v_fma_f16 v35, v35, v52, -v80
	;; [unrolled: 2-line block ×3, first 2 shown]
	v_fmac_f16_e32 v83, v46, v53
	v_add_f16_e32 v16, v28, v42
	v_add_f16_e32 v40, v34, v41
	;; [unrolled: 1-line block ×5, first 2 shown]
	v_sub_f16_e32 v28, v28, v42
	v_add_f16_e32 v42, v67, v73
	v_add_f16_e32 v45, v36, v15
	v_add_f16_e32 v47, v37, v29
	v_sub_f16_e32 v39, v65, v75
	v_sub_f16_e32 v34, v34, v41
	;; [unrolled: 1-line block ×3, first 2 shown]
	v_add_f16_e32 v43, v30, v38
	v_add_f16_e32 v44, v69, v71
	v_sub_f16_e32 v30, v38, v30
	v_sub_f16_e32 v38, v71, v69
	;; [unrolled: 1-line block ×6, first 2 shown]
	v_add_f16_e32 v49, v35, v33
	v_add_f16_e32 v50, v81, v83
	v_sub_f16_e32 v33, v33, v35
	v_sub_f16_e32 v35, v83, v81
	v_add_f16_e32 v51, v40, v16
	v_add_f16_e32 v67, v48, v46
	;; [unrolled: 1-line block ×4, first 2 shown]
	v_sub_f16_e32 v53, v40, v16
	v_sub_f16_e32 v54, v42, v27
	;; [unrolled: 1-line block ×6, first 2 shown]
	v_add_f16_e32 v55, v30, v34
	v_add_f16_e32 v56, v38, v41
	v_sub_f16_e32 v58, v30, v34
	v_sub_f16_e32 v65, v38, v41
	;; [unrolled: 1-line block ×7, first 2 shown]
	v_add_f16_e32 v70, v33, v29
	v_add_f16_e32 v71, v35, v37
	v_sub_f16_e32 v72, v33, v29
	v_sub_f16_e32 v73, v35, v37
	;; [unrolled: 1-line block ×4, first 2 shown]
	v_add_f16_e32 v43, v43, v51
	v_add_f16_e32 v50, v50, v67
	v_sub_f16_e32 v68, v47, v45
	v_sub_f16_e32 v45, v45, v49
	v_sub_f16_e32 v47, v49, v47
	v_add_f16_e32 v44, v44, v52
	v_add_f16_e32 v49, v49, v66
	v_sub_f16_e32 v30, v28, v30
	v_sub_f16_e32 v38, v39, v38
	;; [unrolled: 1-line block ×4, first 2 shown]
	v_add_f16_e32 v28, v55, v28
	v_add_f16_e32 v39, v56, v39
	v_mul_f16_e32 v16, 0x3a52, v16
	v_mul_f16_e32 v27, 0x3a52, v27
	;; [unrolled: 1-line block ×8, first 2 shown]
	v_add_f16_e32 v15, v70, v15
	v_add_f16_e32 v36, v71, v36
	v_mul_f16_e32 v46, 0x3a52, v46
	v_mul_f16_e32 v67, 0x2b26, v48
	;; [unrolled: 1-line block ×6, first 2 shown]
	v_mul_f16_sdwa v74, v59, v0 dst_sel:DWORD dst_unused:UNUSED_PAD src0_sel:DWORD src1_sel:WORD_1
	v_mul_f16_sdwa v75, v21, v0 dst_sel:DWORD dst_unused:UNUSED_PAD src0_sel:DWORD src1_sel:WORD_1
	;; [unrolled: 1-line block ×12, first 2 shown]
	v_add_f16_e32 v26, v26, v43
	v_add_f16_e32 v32, v32, v50
	v_mul_f16_e32 v45, 0x3a52, v45
	v_mul_f16_e32 v66, 0x2b26, v47
	v_add_f16_e32 v31, v31, v44
	v_add_f16_e32 v23, v23, v49
	v_fmamk_f16 v40, v40, 0x2b26, v16
	v_fmamk_f16 v42, v42, 0x2b26, v27
	v_fma_f16 v51, v53, 0x39e0, -v51
	v_fma_f16 v52, v54, 0x39e0, -v52
	;; [unrolled: 1-line block ×4, first 2 shown]
	v_fmamk_f16 v53, v30, 0x3574, v55
	v_fmamk_f16 v54, v38, 0x3574, v56
	v_fma_f16 v34, v34, 0x3b00, -v55
	v_fma_f16 v41, v41, 0x3b00, -v56
	v_fma_f16 v30, v30, 0xb574, -v58
	v_fma_f16 v38, v38, 0xb574, -v65
	v_fmamk_f16 v48, v48, 0x2b26, v46
	v_fma_f16 v56, v69, 0x39e0, -v67
	v_fma_f16 v46, v69, 0xb9e0, -v46
	v_fmamk_f16 v58, v33, 0x3574, v70
	v_fmamk_f16 v65, v35, 0x3574, v71
	v_fma_f16 v29, v29, 0x3b00, -v70
	v_fma_f16 v37, v37, 0x3b00, -v71
	;; [unrolled: 1-line block ×5, first 2 shown]
	v_fmac_f16_e32 v75, v59, v0
	v_fma_f16 v0, v19, v1, -v76
	v_fmac_f16_e32 v77, v57, v1
	v_fma_f16 v1, v24, v2, -v78
	;; [unrolled: 2-line block ×5, first 2 shown]
	v_fmac_f16_e32 v85, v62, v18
	v_fmamk_f16 v18, v43, 0xbcab, v26
	v_fmamk_f16 v22, v50, 0xbcab, v32
	;; [unrolled: 1-line block ×3, first 2 shown]
	v_fma_f16 v55, v68, 0x39e0, -v66
	v_fma_f16 v45, v68, 0xb9e0, -v45
	v_fmamk_f16 v19, v44, 0xbcab, v31
	v_fmamk_f16 v20, v49, 0xbcab, v23
	v_fmac_f16_e32 v53, 0x370e, v28
	v_fmac_f16_e32 v34, 0x370e, v28
	;; [unrolled: 1-line block ×9, first 2 shown]
	ds_write_b16 v8, v26
	ds_write_b16 v8, v23 offset:770
	v_add_f16_e32 v15, v40, v18
	v_add_f16_e32 v26, v48, v22
	;; [unrolled: 1-line block ×6, first 2 shown]
	v_fmac_f16_e32 v54, 0x370e, v39
	v_fmac_f16_e32 v41, 0x370e, v39
	;; [unrolled: 1-line block ×3, first 2 shown]
	v_add_f16_e32 v23, v42, v19
	v_add_f16_e32 v24, v51, v18
	;; [unrolled: 1-line block ×10, first 2 shown]
	v_sub_f16_e32 v0, v0, v3
	v_sub_f16_e32 v3, v77, v83
	v_add_f16_e32 v43, v1, v2
	v_sub_f16_e32 v1, v2, v1
	v_sub_f16_e32 v2, v81, v79
	;; [unrolled: 1-line block ×3, first 2 shown]
	v_add_f16_e32 v33, v33, v22
	v_add_f16_e32 v22, v40, v36
	v_sub_f16_e32 v17, v21, v17
	v_sub_f16_e32 v21, v75, v85
	v_add_f16_e32 v44, v79, v81
	v_sub_f16_e32 v46, v23, v53
	v_add_f16_e32 v47, v38, v16
	;; [unrolled: 2-line block ×6, first 2 shown]
	v_add_f16_e32 v26, v42, v39
	v_add_f16_e32 v45, v54, v15
	;; [unrolled: 1-line block ×3, first 2 shown]
	v_sub_f16_e32 v34, v25, v34
	v_sub_f16_e32 v15, v15, v54
	;; [unrolled: 1-line block ×3, first 2 shown]
	v_add_f16_e32 v52, v29, v28
	v_add_f16_e32 v27, v37, v27
	v_sub_f16_e32 v37, v28, v29
	v_sub_f16_e32 v28, v40, v36
	;; [unrolled: 1-line block ×3, first 2 shown]
	v_add_f16_e32 v54, v2, v3
	v_sub_f16_e32 v56, v2, v3
	v_add_f16_e32 v22, v43, v22
	v_sub_f16_e32 v29, v42, v39
	v_sub_f16_e32 v39, v39, v44
	;; [unrolled: 1-line block ×4, first 2 shown]
	v_add_f16_e32 v26, v44, v26
	v_sub_f16_e32 v42, v44, v42
	v_add_f16_e32 v53, v1, v0
	v_sub_f16_e32 v55, v1, v0
	v_sub_f16_e32 v0, v0, v17
	;; [unrolled: 1-line block ×3, first 2 shown]
	v_add_f16_e32 v21, v54, v21
	v_mul_f16_e32 v36, 0x3a52, v36
	v_mul_f16_e32 v54, 0xb846, v56
	v_add_f16_e32 v13, v13, v22
	v_sub_f16_e32 v48, v18, v30
	v_add_f16_e32 v30, v30, v18
	v_add_f16_e32 v18, v65, v19
	v_sub_f16_e32 v19, v19, v65
	v_mul_f16_e32 v39, 0x3a52, v39
	v_mul_f16_e32 v43, 0x2b26, v40
	;; [unrolled: 1-line block ×3, first 2 shown]
	ds_write_b16 v8, v45 offset:110
	ds_write_b16 v8, v47 offset:220
	;; [unrolled: 1-line block ×12, first 2 shown]
	v_add_f16_e32 v45, v14, v26
	v_sub_f16_e32 v1, v17, v1
	v_add_f16_e32 v17, v53, v17
	v_mul_f16_e32 v44, 0x2b26, v42
	v_mul_f16_e32 v53, 0xb846, v55
	;; [unrolled: 1-line block ×3, first 2 shown]
	v_fmamk_f16 v14, v40, 0x2b26, v36
	v_fmamk_f16 v24, v2, 0x3574, v54
	;; [unrolled: 1-line block ×4, first 2 shown]
	v_fma_f16 v16, v28, 0x39e0, -v43
	v_fma_f16 v19, v28, 0xb9e0, -v36
	;; [unrolled: 1-line block ×3, first 2 shown]
	v_fmamk_f16 v25, v26, 0xbcab, v45
	v_fma_f16 v3, v3, 0x3b00, -v54
	v_fma_f16 v18, v29, 0x39e0, -v44
	;; [unrolled: 1-line block ×3, first 2 shown]
	v_fmamk_f16 v23, v1, 0x3574, v53
	v_fma_f16 v0, v0, 0x3b00, -v53
	v_fma_f16 v1, v1, 0xb574, -v55
	v_fmac_f16_e32 v24, 0x370e, v21
	ds_write_b16 v64, v13 offset:1540
	v_add_f16_e32 v13, v14, v22
	v_fmac_f16_e32 v2, 0x370e, v21
	v_add_f16_e32 v14, v15, v25
	v_add_f16_e32 v15, v16, v22
	;; [unrolled: 1-line block ×3, first 2 shown]
	v_fmac_f16_e32 v3, 0x370e, v21
	v_fmac_f16_e32 v23, 0x370e, v17
	;; [unrolled: 1-line block ×4, first 2 shown]
	v_add_f16_e32 v17, v20, v25
	v_add_f16_e32 v18, v18, v25
	;; [unrolled: 1-line block ×4, first 2 shown]
	v_sub_f16_e32 v21, v15, v3
	v_add_f16_e32 v3, v3, v15
	v_sub_f16_e32 v39, v17, v1
	v_add_f16_e32 v40, v0, v18
	v_sub_f16_e32 v42, v18, v0
	v_sub_f16_e32 v0, v16, v2
	v_add_f16_e32 v43, v1, v17
	v_sub_f16_e32 v1, v13, v24
	v_sub_f16_e32 v36, v14, v23
	v_add_f16_e32 v44, v23, v14
	ds_write_b16 v64, v19 offset:1650
	ds_write_b16 v64, v20 offset:1760
	ds_write_b16 v64, v21 offset:1870
	ds_write_b16 v64, v3 offset:1980
	ds_write_b16 v64, v0 offset:2090
	ds_write_b16 v64, v1 offset:2200
	s_waitcnt lgkmcnt(0)
	s_barrier
	buffer_gl0_inv
	ds_read_u16 v0, v8
	ds_read_u16 v1, v8 offset:110
	ds_read_u16 v2, v8 offset:220
	;; [unrolled: 1-line block ×20, first 2 shown]
	s_waitcnt lgkmcnt(0)
	s_barrier
	buffer_gl0_inv
	ds_write_b16 v8, v31
	ds_write_b16 v8, v46 offset:110
	ds_write_b16 v8, v48 offset:220
	;; [unrolled: 1-line block ×20, first 2 shown]
	s_waitcnt lgkmcnt(0)
	s_barrier
	buffer_gl0_inv
	s_and_saveexec_b32 s0, vcc_lo
	s_cbranch_execz .LBB0_27
; %bb.26:
	v_add_nc_u32_e32 v45, 0x14a, v4
	v_mov_b32_e32 v31, 0
	v_lshlrev_b32_e32 v32, 1, v4
	v_lshlrev_b32_e32 v30, 1, v45
	v_lshlrev_b64 v[33:34], 2, v[30:31]
	v_add_nc_u32_e32 v30, 0x226, v32
	v_lshlrev_b64 v[35:36], 2, v[30:31]
	v_lshlrev_b32_e32 v30, 1, v5
	v_add_co_u32 v33, vcc_lo, s8, v33
	v_add_co_ci_u32_e32 v34, vcc_lo, s9, v34, vcc_lo
	v_lshlrev_b64 v[39:40], 2, v[30:31]
	v_lshlrev_b32_e32 v30, 1, v11
	global_load_dwordx2 v[37:38], v[33:34], off offset:1496
	v_add_co_u32 v33, vcc_lo, s8, v35
	v_lshlrev_b64 v[41:42], 2, v[30:31]
	v_lshlrev_b32_e32 v30, 1, v10
	v_add_co_ci_u32_e32 v34, vcc_lo, s9, v36, vcc_lo
	v_add_co_u32 v39, vcc_lo, s8, v39
	v_lshlrev_b64 v[10:11], 2, v[30:31]
	v_add_co_ci_u32_e32 v40, vcc_lo, s9, v40, vcc_lo
	v_add_co_u32 v41, vcc_lo, s8, v41
	v_add_co_ci_u32_e32 v42, vcc_lo, s9, v42, vcc_lo
	v_add_co_u32 v10, vcc_lo, s8, v10
	v_add_co_ci_u32_e32 v11, vcc_lo, s9, v11, vcc_lo
	s_clause 0x2
	global_load_dwordx2 v[34:35], v[33:34], off offset:1496
	global_load_dwordx2 v[39:40], v[39:40], off offset:1496
	global_load_dwordx2 v[41:42], v[41:42], off offset:1496
	v_lshlrev_b32_e32 v30, 1, v9
	global_load_dwordx2 v[10:11], v[10:11], off offset:1496
	v_mov_b32_e32 v33, v31
	v_mul_hi_u32 v9, 0x551c979b, v5
	v_mov_b32_e32 v5, v31
	v_lshlrev_b64 v[43:44], 2, v[30:31]
	v_mul_hi_u32 v30, 0x551c979b, v45
	v_lshlrev_b64 v[32:33], 2, v[32:33]
	v_lshlrev_b64 v[4:5], 2, v[4:5]
	v_add_co_u32 v43, vcc_lo, s8, v43
	v_add_co_ci_u32_e32 v44, vcc_lo, s9, v44, vcc_lo
	v_add_co_u32 v32, vcc_lo, s8, v32
	v_add_co_ci_u32_e32 v33, vcc_lo, s9, v33, vcc_lo
	s_clause 0x1
	global_load_dwordx2 v[43:44], v[43:44], off offset:1496
	global_load_dwordx2 v[32:33], v[32:33], off offset:1496
	ds_read_u16 v36, v12 offset:660
	ds_read_u16 v55, v12 offset:550
	;; [unrolled: 1-line block ×20, first 2 shown]
	ds_read_u16 v73, v8
	v_add_co_u32 v6, vcc_lo, s2, v6
	v_lshrrev_b32_e32 v8, 7, v9
	v_add_co_ci_u32_e32 v7, vcc_lo, s3, v7, vcc_lo
	v_lshrrev_b32_e32 v47, 7, v30
	v_add_co_u32 v4, vcc_lo, v6, v4
	v_mul_u32_u24_e32 v30, 0x302, v8
	v_add_co_ci_u32_e32 v5, vcc_lo, v7, v5, vcc_lo
	v_add_co_u32 v6, vcc_lo, 0x800, v4
	v_lshlrev_b64 v[8:9], 2, v[30:31]
	v_add_co_ci_u32_e32 v7, vcc_lo, 0, v5, vcc_lo
	v_add_co_u32 v45, vcc_lo, 0x1000, v4
	v_mul_u32_u24_e32 v30, 0x302, v47
	v_add_co_ci_u32_e32 v46, vcc_lo, 0, v5, vcc_lo
	v_add_co_u32 v8, vcc_lo, v4, v8
	v_add_co_ci_u32_e32 v9, vcc_lo, v5, v9, vcc_lo
	v_lshlrev_b64 v[30:31], 2, v[30:31]
	v_add_co_u32 v47, vcc_lo, 0x370, v8
	v_add_co_ci_u32_e32 v48, vcc_lo, 0, v9, vcc_lo
	v_add_co_u32 v30, vcc_lo, v4, v30
	v_add_co_ci_u32_e32 v31, vcc_lo, v5, v31, vcc_lo
	;; [unrolled: 2-line block ×5, first 2 shown]
	s_waitcnt vmcnt(6)
	v_mul_f16_sdwa v74, v29, v38 dst_sel:DWORD dst_unused:UNUSED_PAD src0_sel:DWORD src1_sel:WORD_1
	v_mul_f16_sdwa v75, v28, v37 dst_sel:DWORD dst_unused:UNUSED_PAD src0_sel:DWORD src1_sel:WORD_1
	s_waitcnt lgkmcnt(10)
	v_mul_f16_sdwa v76, v63, v37 dst_sel:DWORD dst_unused:UNUSED_PAD src0_sel:DWORD src1_sel:WORD_1
	v_mul_f16_sdwa v77, v56, v38 dst_sel:DWORD dst_unused:UNUSED_PAD src0_sel:DWORD src1_sel:WORD_1
	v_fmac_f16_e32 v74, v56, v38
	v_fmac_f16_e32 v75, v63, v37
	v_fma_f16 v28, v28, v37, -v76
	v_fma_f16 v29, v29, v38, -v77
	v_add_f16_e32 v76, v36, v75
	v_add_f16_e32 v77, v18, v28
	v_sub_f16_e32 v78, v28, v29
	v_add_f16_e32 v28, v29, v28
	v_add_f16_e32 v79, v74, v75
	v_sub_f16_e32 v75, v75, v74
	v_add_f16_e32 v29, v29, v77
	v_fmac_f16_e32 v18, -0.5, v28
	s_waitcnt vmcnt(5)
	v_mul_f16_sdwa v37, v26, v34 dst_sel:DWORD dst_unused:UNUSED_PAD src0_sel:DWORD src1_sel:WORD_1
	v_mul_f16_sdwa v38, v27, v35 dst_sel:DWORD dst_unused:UNUSED_PAD src0_sel:DWORD src1_sel:WORD_1
	s_waitcnt lgkmcnt(9)
	v_mul_f16_sdwa v56, v64, v34 dst_sel:DWORD dst_unused:UNUSED_PAD src0_sel:DWORD src1_sel:WORD_1
	v_mul_f16_sdwa v63, v57, v35 dst_sel:DWORD dst_unused:UNUSED_PAD src0_sel:DWORD src1_sel:WORD_1
	v_fmac_f16_e32 v36, -0.5, v79
	v_fmac_f16_e32 v37, v64, v34
	v_fmac_f16_e32 v38, v57, v35
	v_fma_f16 v26, v26, v34, -v56
	v_fma_f16 v27, v27, v35, -v63
	s_waitcnt vmcnt(4) lgkmcnt(8)
	v_mul_f16_sdwa v34, v65, v39 dst_sel:DWORD dst_unused:UNUSED_PAD src0_sel:DWORD src1_sel:WORD_1
	v_mul_f16_sdwa v35, v58, v40 dst_sel:DWORD dst_unused:UNUSED_PAD src0_sel:DWORD src1_sel:WORD_1
	;; [unrolled: 1-line block ×4, first 2 shown]
	v_add_f16_e32 v63, v74, v76
	v_add_f16_e32 v28, v37, v38
	v_sub_f16_e32 v64, v26, v27
	v_add_f16_e32 v74, v26, v27
	v_sub_f16_e32 v76, v37, v38
	v_add_f16_e32 v37, v55, v37
	v_add_f16_e32 v26, v23, v26
	v_fma_f16 v25, v25, v39, -v34
	v_fma_f16 v24, v24, v40, -v35
	v_fmac_f16_e32 v56, v39, v65
	v_fmac_f16_e32 v57, v40, v58
	s_waitcnt vmcnt(3) lgkmcnt(7)
	v_mul_f16_sdwa v34, v66, v41 dst_sel:DWORD dst_unused:UNUSED_PAD src0_sel:DWORD src1_sel:WORD_1
	v_mul_f16_sdwa v35, v59, v42 dst_sel:DWORD dst_unused:UNUSED_PAD src0_sel:DWORD src1_sel:WORD_1
	;; [unrolled: 1-line block ×4, first 2 shown]
	v_fma_f16 v28, -0.5, v28, v55
	v_fma_f16 v23, -0.5, v74, v23
	v_add_f16_e32 v37, v37, v38
	v_add_f16_e32 v26, v26, v27
	v_sub_f16_e32 v27, v25, v24
	v_add_f16_e32 v38, v56, v57
	v_add_f16_e32 v55, v25, v24
	v_sub_f16_e32 v74, v56, v57
	v_add_f16_e32 v56, v56, v12
	v_add_f16_e32 v25, v21, v25
	v_fma_f16 v20, v20, v41, -v34
	v_fma_f16 v22, v22, v42, -v35
	v_fmac_f16_e32 v39, v41, v66
	v_fmac_f16_e32 v40, v42, v59
	s_waitcnt vmcnt(2) lgkmcnt(6)
	v_mul_f16_sdwa v34, v67, v10 dst_sel:DWORD dst_unused:UNUSED_PAD src0_sel:DWORD src1_sel:WORD_1
	v_mul_f16_sdwa v35, v60, v11 dst_sel:DWORD dst_unused:UNUSED_PAD src0_sel:DWORD src1_sel:WORD_1
	;; [unrolled: 1-line block ×4, first 2 shown]
	v_fmamk_f16 v59, v64, 0xbaee, v28
	v_fmac_f16_e32 v28, 0x3aee, v64
	v_fma_f16 v12, -0.5, v38, v12
	v_fma_f16 v21, -0.5, v55, v21
	v_add_f16_e32 v38, v57, v56
	v_add_f16_e32 v24, v25, v24
	v_sub_f16_e32 v25, v20, v22
	v_add_f16_e32 v55, v39, v40
	v_add_f16_e32 v56, v20, v22
	v_sub_f16_e32 v57, v39, v40
	s_waitcnt lgkmcnt(3)
	v_add_f16_e32 v39, v39, v70
	v_add_f16_e32 v20, v16, v20
	v_fma_f16 v17, v17, v10, -v34
	v_fma_f16 v19, v19, v11, -v35
	v_fmac_f16_e32 v41, v10, v67
	v_fmac_f16_e32 v42, v11, v60
	s_waitcnt vmcnt(1)
	v_mul_f16_sdwa v10, v68, v43 dst_sel:DWORD dst_unused:UNUSED_PAD src0_sel:DWORD src1_sel:WORD_1
	v_mul_f16_sdwa v11, v61, v44 dst_sel:DWORD dst_unused:UNUSED_PAD src0_sel:DWORD src1_sel:WORD_1
	;; [unrolled: 1-line block ×4, first 2 shown]
	s_waitcnt vmcnt(0)
	v_mul_f16_sdwa v60, v69, v32 dst_sel:DWORD dst_unused:UNUSED_PAD src0_sel:DWORD src1_sel:WORD_1
	v_mul_f16_sdwa v64, v62, v33 dst_sel:DWORD dst_unused:UNUSED_PAD src0_sel:DWORD src1_sel:WORD_1
	v_mul_f16_sdwa v66, v13, v32 dst_sel:DWORD dst_unused:UNUSED_PAD src0_sel:DWORD src1_sel:WORD_1
	v_mul_f16_sdwa v67, v15, v33 dst_sel:DWORD dst_unused:UNUSED_PAD src0_sel:DWORD src1_sel:WORD_1
	v_fmamk_f16 v58, v78, 0x3aee, v36
	v_fmac_f16_e32 v36, 0xbaee, v78
	v_fmamk_f16 v65, v75, 0xbaee, v18
	v_fmac_f16_e32 v18, 0x3aee, v75
	v_pack_b32_f16 v26, v26, v37
	v_fmamk_f16 v37, v27, 0x3aee, v12
	v_fmac_f16_e32 v12, 0xbaee, v27
	v_fma_f16 v27, -0.5, v55, v70
	v_fma_f16 v16, -0.5, v56, v16
	v_add_f16_e32 v39, v40, v39
	v_add_f16_e32 v20, v20, v22
	v_sub_f16_e32 v22, v17, v19
	v_add_f16_e32 v40, v41, v42
	v_add_f16_e32 v55, v17, v19
	v_sub_f16_e32 v56, v41, v42
	s_waitcnt lgkmcnt(2)
	v_add_f16_e32 v41, v41, v71
	v_add_f16_e32 v17, v2, v17
	v_fma_f16 v3, v3, v43, -v10
	v_fma_f16 v10, v14, v44, -v11
	v_fmac_f16_e32 v34, v43, v68
	v_fmac_f16_e32 v35, v44, v61
	v_fma_f16 v11, v13, v32, -v60
	v_fma_f16 v13, v15, v33, -v64
	v_fmac_f16_e32 v66, v32, v69
	v_fmac_f16_e32 v67, v33, v62
	v_pack_b32_f16 v29, v29, v63
	v_fmamk_f16 v63, v76, 0x3aee, v23
	v_fmac_f16_e32 v23, 0xbaee, v76
	v_pack_b32_f16 v18, v18, v36
	v_pack_b32_f16 v36, v65, v58
	v_fmamk_f16 v58, v74, 0xbaee, v21
	v_fmac_f16_e32 v21, 0x3aee, v74
	v_pack_b32_f16 v14, v24, v38
	v_fmamk_f16 v24, v25, 0x3aee, v27
	v_fmac_f16_e32 v27, 0xbaee, v25
	v_fma_f16 v25, -0.5, v40, v71
	v_add_f16_e32 v32, v42, v41
	v_add_f16_e32 v17, v17, v19
	v_sub_f16_e32 v19, v3, v10
	v_add_f16_e32 v33, v34, v35
	v_add_f16_e32 v38, v3, v10
	;; [unrolled: 1-line block ×5, first 2 shown]
	v_fma_f16 v2, -0.5, v55, v2
	v_sub_f16_e32 v40, v34, v35
	s_waitcnt lgkmcnt(1)
	v_add_f16_e32 v34, v34, v72
	v_sub_f16_e32 v41, v11, v13
	v_add_f16_e32 v11, v0, v11
	v_pack_b32_f16 v23, v23, v28
	v_fmamk_f16 v28, v57, 0xbaee, v16
	v_sub_f16_e32 v44, v66, v67
	s_waitcnt lgkmcnt(0)
	v_add_f16_e32 v55, v66, v73
	v_pack_b32_f16 v20, v20, v39
	v_pack_b32_f16 v12, v21, v12
	;; [unrolled: 1-line block ×3, first 2 shown]
	v_fmamk_f16 v37, v22, 0x3aee, v25
	v_fmac_f16_e32 v25, 0xbaee, v22
	v_fma_f16 v22, -0.5, v33, v72
	v_add_f16_e32 v3, v3, v10
	v_fma_f16 v10, -0.5, v42, v73
	v_fma_f16 v0, -0.5, v43, v0
	;; [unrolled: 1-line block ×3, first 2 shown]
	v_fmac_f16_e32 v16, 0x3aee, v57
	v_fmamk_f16 v39, v56, 0xbaee, v2
	v_fmac_f16_e32 v2, 0x3aee, v56
	v_add_f16_e32 v33, v35, v34
	v_add_f16_e32 v11, v11, v13
	v_pack_b32_f16 v13, v17, v32
	v_add_f16_e32 v34, v67, v55
	global_store_dword v[4:5], v20, off offset:660
	v_pack_b32_f16 v17, v28, v24
	v_fmamk_f16 v20, v19, 0x3aee, v22
	v_fmac_f16_e32 v22, 0xbaee, v19
	v_fmamk_f16 v19, v41, 0x3aee, v10
	v_fmamk_f16 v24, v44, 0xbaee, v0
	v_fmac_f16_e32 v10, 0xbaee, v41
	v_fmac_f16_e32 v0, 0x3aee, v44
	global_store_dword v[49:50], v21, off offset:1912
	v_fmamk_f16 v21, v40, 0xbaee, v1
	v_fmac_f16_e32 v1, 0x3aee, v40
	v_pack_b32_f16 v16, v16, v27
	v_pack_b32_f16 v3, v3, v33
	;; [unrolled: 1-line block ×3, first 2 shown]
	global_store_dword v[4:5], v13, off offset:440
	v_pack_b32_f16 v13, v39, v37
	v_pack_b32_f16 v11, v11, v34
	;; [unrolled: 1-line block ×6, first 2 shown]
	global_store_dword v[6:7], v16, off offset:152
	global_store_dword v[6:7], v17, off offset:1692
	global_store_dword v[4:5], v11, off
	global_store_dword v[4:5], v3, off offset:220
	v_pack_b32_f16 v3, v21, v20
	global_store_dword v[4:5], v2, off offset:1980
	global_store_dword v[6:7], v13, off offset:1472
	;; [unrolled: 1-line block ×14, first 2 shown]
.LBB0_27:
	s_endpgm
	.section	.rodata,"a",@progbits
	.p2align	6, 0x0
	.amdhsa_kernel fft_rtc_fwd_len1155_factors_11_5_7_3_wgs_55_tpt_55_halfLds_half_ip_CI_unitstride_sbrr_dirReg
		.amdhsa_group_segment_fixed_size 0
		.amdhsa_private_segment_fixed_size 0
		.amdhsa_kernarg_size 88
		.amdhsa_user_sgpr_count 6
		.amdhsa_user_sgpr_private_segment_buffer 1
		.amdhsa_user_sgpr_dispatch_ptr 0
		.amdhsa_user_sgpr_queue_ptr 0
		.amdhsa_user_sgpr_kernarg_segment_ptr 1
		.amdhsa_user_sgpr_dispatch_id 0
		.amdhsa_user_sgpr_flat_scratch_init 0
		.amdhsa_user_sgpr_private_segment_size 0
		.amdhsa_wavefront_size32 1
		.amdhsa_uses_dynamic_stack 0
		.amdhsa_system_sgpr_private_segment_wavefront_offset 0
		.amdhsa_system_sgpr_workgroup_id_x 1
		.amdhsa_system_sgpr_workgroup_id_y 0
		.amdhsa_system_sgpr_workgroup_id_z 0
		.amdhsa_system_sgpr_workgroup_info 0
		.amdhsa_system_vgpr_workitem_id 0
		.amdhsa_next_free_vgpr 96
		.amdhsa_next_free_sgpr 21
		.amdhsa_reserve_vcc 1
		.amdhsa_reserve_flat_scratch 0
		.amdhsa_float_round_mode_32 0
		.amdhsa_float_round_mode_16_64 0
		.amdhsa_float_denorm_mode_32 3
		.amdhsa_float_denorm_mode_16_64 3
		.amdhsa_dx10_clamp 1
		.amdhsa_ieee_mode 1
		.amdhsa_fp16_overflow 0
		.amdhsa_workgroup_processor_mode 1
		.amdhsa_memory_ordered 1
		.amdhsa_forward_progress 0
		.amdhsa_shared_vgpr_count 0
		.amdhsa_exception_fp_ieee_invalid_op 0
		.amdhsa_exception_fp_denorm_src 0
		.amdhsa_exception_fp_ieee_div_zero 0
		.amdhsa_exception_fp_ieee_overflow 0
		.amdhsa_exception_fp_ieee_underflow 0
		.amdhsa_exception_fp_ieee_inexact 0
		.amdhsa_exception_int_div_zero 0
	.end_amdhsa_kernel
	.text
.Lfunc_end0:
	.size	fft_rtc_fwd_len1155_factors_11_5_7_3_wgs_55_tpt_55_halfLds_half_ip_CI_unitstride_sbrr_dirReg, .Lfunc_end0-fft_rtc_fwd_len1155_factors_11_5_7_3_wgs_55_tpt_55_halfLds_half_ip_CI_unitstride_sbrr_dirReg
                                        ; -- End function
	.section	.AMDGPU.csdata,"",@progbits
; Kernel info:
; codeLenInByte = 14904
; NumSgprs: 23
; NumVgprs: 96
; ScratchSize: 0
; MemoryBound: 0
; FloatMode: 240
; IeeeMode: 1
; LDSByteSize: 0 bytes/workgroup (compile time only)
; SGPRBlocks: 2
; VGPRBlocks: 11
; NumSGPRsForWavesPerEU: 23
; NumVGPRsForWavesPerEU: 96
; Occupancy: 10
; WaveLimiterHint : 1
; COMPUTE_PGM_RSRC2:SCRATCH_EN: 0
; COMPUTE_PGM_RSRC2:USER_SGPR: 6
; COMPUTE_PGM_RSRC2:TRAP_HANDLER: 0
; COMPUTE_PGM_RSRC2:TGID_X_EN: 1
; COMPUTE_PGM_RSRC2:TGID_Y_EN: 0
; COMPUTE_PGM_RSRC2:TGID_Z_EN: 0
; COMPUTE_PGM_RSRC2:TIDIG_COMP_CNT: 0
	.text
	.p2alignl 6, 3214868480
	.fill 48, 4, 3214868480
	.type	__hip_cuid_2f9cf868f36eca9d,@object ; @__hip_cuid_2f9cf868f36eca9d
	.section	.bss,"aw",@nobits
	.globl	__hip_cuid_2f9cf868f36eca9d
__hip_cuid_2f9cf868f36eca9d:
	.byte	0                               ; 0x0
	.size	__hip_cuid_2f9cf868f36eca9d, 1

	.ident	"AMD clang version 19.0.0git (https://github.com/RadeonOpenCompute/llvm-project roc-6.4.0 25133 c7fe45cf4b819c5991fe208aaa96edf142730f1d)"
	.section	".note.GNU-stack","",@progbits
	.addrsig
	.addrsig_sym __hip_cuid_2f9cf868f36eca9d
	.amdgpu_metadata
---
amdhsa.kernels:
  - .args:
      - .actual_access:  read_only
        .address_space:  global
        .offset:         0
        .size:           8
        .value_kind:     global_buffer
      - .offset:         8
        .size:           8
        .value_kind:     by_value
      - .actual_access:  read_only
        .address_space:  global
        .offset:         16
        .size:           8
        .value_kind:     global_buffer
      - .actual_access:  read_only
        .address_space:  global
        .offset:         24
        .size:           8
        .value_kind:     global_buffer
      - .offset:         32
        .size:           8
        .value_kind:     by_value
      - .actual_access:  read_only
        .address_space:  global
        .offset:         40
        .size:           8
        .value_kind:     global_buffer
      - .actual_access:  read_only
        .address_space:  global
        .offset:         48
        .size:           8
        .value_kind:     global_buffer
      - .offset:         56
        .size:           4
        .value_kind:     by_value
      - .actual_access:  read_only
        .address_space:  global
        .offset:         64
        .size:           8
        .value_kind:     global_buffer
      - .actual_access:  read_only
        .address_space:  global
        .offset:         72
        .size:           8
        .value_kind:     global_buffer
      - .address_space:  global
        .offset:         80
        .size:           8
        .value_kind:     global_buffer
    .group_segment_fixed_size: 0
    .kernarg_segment_align: 8
    .kernarg_segment_size: 88
    .language:       OpenCL C
    .language_version:
      - 2
      - 0
    .max_flat_workgroup_size: 55
    .name:           fft_rtc_fwd_len1155_factors_11_5_7_3_wgs_55_tpt_55_halfLds_half_ip_CI_unitstride_sbrr_dirReg
    .private_segment_fixed_size: 0
    .sgpr_count:     23
    .sgpr_spill_count: 0
    .symbol:         fft_rtc_fwd_len1155_factors_11_5_7_3_wgs_55_tpt_55_halfLds_half_ip_CI_unitstride_sbrr_dirReg.kd
    .uniform_work_group_size: 1
    .uses_dynamic_stack: false
    .vgpr_count:     96
    .vgpr_spill_count: 0
    .wavefront_size: 32
    .workgroup_processor_mode: 1
amdhsa.target:   amdgcn-amd-amdhsa--gfx1030
amdhsa.version:
  - 1
  - 2
...

	.end_amdgpu_metadata
